;; amdgpu-corpus repo=ROCm/rocFFT kind=compiled arch=gfx906 opt=O3
	.text
	.amdgcn_target "amdgcn-amd-amdhsa--gfx906"
	.amdhsa_code_object_version 6
	.protected	bluestein_single_back_len1701_dim1_sp_op_CI_CI ; -- Begin function bluestein_single_back_len1701_dim1_sp_op_CI_CI
	.globl	bluestein_single_back_len1701_dim1_sp_op_CI_CI
	.p2align	8
	.type	bluestein_single_back_len1701_dim1_sp_op_CI_CI,@function
bluestein_single_back_len1701_dim1_sp_op_CI_CI: ; @bluestein_single_back_len1701_dim1_sp_op_CI_CI
; %bb.0:
	s_load_dwordx4 s[16:19], s[4:5], 0x28
	s_mov_b64 s[22:23], s[2:3]
	v_mul_u32_u24_e32 v1, 0x411, v0
	s_mov_b64 s[20:21], s[0:1]
	v_add_u32_sdwa v4, s6, v1 dst_sel:DWORD dst_unused:UNUSED_PAD src0_sel:DWORD src1_sel:WORD_1
	v_mov_b32_e32 v5, 0
	s_add_u32 s20, s20, s7
	s_waitcnt lgkmcnt(0)
	v_cmp_gt_u64_e32 vcc, s[16:17], v[4:5]
	s_addc_u32 s21, s21, 0
	s_and_saveexec_b64 s[0:1], vcc
	s_cbranch_execz .LBB0_10
; %bb.1:
	s_load_dwordx4 s[0:3], s[4:5], 0x18
	s_load_dwordx4 s[12:15], s[4:5], 0x0
	v_mov_b32_e32 v2, 63
	v_mul_lo_u16_sdwa v1, v1, v2 dst_sel:DWORD dst_unused:UNUSED_PAD src0_sel:WORD_1 src1_sel:DWORD
	v_sub_u16_e32 v240, v0, v1
	s_waitcnt lgkmcnt(0)
	s_load_dwordx4 s[8:11], s[0:1], 0x0
	v_mov_b32_e32 v5, v4
	buffer_store_dword v5, off, s[20:23], 0 offset:128 ; 4-byte Folded Spill
	s_nop 0
	buffer_store_dword v6, off, s[20:23], 0 offset:132 ; 4-byte Folded Spill
	v_lshlrev_b32_e32 v255, 3, v240
	global_load_dwordx2 v[60:61], v255, s[12:13]
	s_waitcnt lgkmcnt(0)
	v_mad_u64_u32 v[0:1], s[0:1], s10, v4, 0
	v_mad_u64_u32 v[2:3], s[0:1], s8, v240, 0
	s_movk_i32 s6, 0x1000
	s_movk_i32 s7, 0x2000
	v_mad_u64_u32 v[4:5], s[0:1], s11, v4, v[1:2]
	s_mul_i32 s16, s8, 0xffffde88
	v_add_u32_e32 v144, 0x1000, v255
	v_mad_u64_u32 v[5:6], s[0:1], s9, v240, v[3:4]
	v_mov_b32_e32 v1, v4
	v_lshlrev_b64 v[0:1], 3, v[0:1]
	v_mov_b32_e32 v6, s19
	v_mov_b32_e32 v3, v5
	v_add_co_u32_e32 v4, vcc, s18, v0
	v_addc_co_u32_e32 v5, vcc, v6, v1, vcc
	v_lshlrev_b64 v[0:1], 3, v[2:3]
	v_mov_b32_e32 v3, s13
	v_add_co_u32_e32 v0, vcc, v4, v0
	v_addc_co_u32_e32 v1, vcc, v5, v1, vcc
	v_add_co_u32_e32 v2, vcc, s12, v255
	s_mul_i32 s0, s9, 0x11b8
	s_mul_hi_u32 s1, s8, 0x11b8
	v_addc_co_u32_e32 v3, vcc, 0, v3, vcc
	s_add_i32 s0, s1, s0
	s_mul_i32 s1, s8, 0x11b8
	v_mov_b32_e32 v5, s0
	v_add_co_u32_e32 v4, vcc, s1, v0
	v_addc_co_u32_e32 v5, vcc, v1, v5, vcc
	global_load_dwordx2 v[6:7], v[0:1], off
	global_load_dwordx2 v[8:9], v[4:5], off
	v_add_co_u32_e32 v0, vcc, s6, v2
	v_addc_co_u32_e32 v1, vcc, 0, v3, vcc
	v_mov_b32_e32 v10, s0
	v_add_co_u32_e32 v4, vcc, s1, v4
	v_addc_co_u32_e32 v5, vcc, v5, v10, vcc
	v_add_co_u32_e32 v12, vcc, s7, v2
	s_mul_i32 s7, s9, 0xffffde88
	s_mul_hi_u32 s9, s8, 0xffffde88
	s_sub_i32 s9, s9, s8
	v_addc_co_u32_e32 v13, vcc, 0, v3, vcc
	s_add_i32 s7, s9, s7
	global_load_dwordx2 v[10:11], v[4:5], off
	v_mov_b32_e32 v14, s7
	v_add_co_u32_e32 v4, vcc, s16, v4
	v_addc_co_u32_e32 v5, vcc, v5, v14, vcc
	v_mov_b32_e32 v15, s0
	v_add_co_u32_e32 v14, vcc, s1, v4
	v_addc_co_u32_e32 v15, vcc, v5, v15, vcc
	global_load_dwordx2 v[40:41], v[0:1], off offset:440
	global_load_dwordx2 v[56:57], v[12:13], off offset:880
	global_load_dwordx2 v[58:59], v255, s[12:13] offset:504
	global_load_dwordx2 v[16:17], v[4:5], off
	global_load_dwordx2 v[18:19], v[14:15], off
	global_load_dwordx2 v[54:55], v[0:1], off offset:944
	v_mov_b32_e32 v5, s0
	v_add_co_u32_e32 v4, vcc, s1, v14
	v_addc_co_u32_e32 v5, vcc, v15, v5, vcc
	global_load_dwordx2 v[14:15], v[4:5], off
	global_load_dwordx2 v[52:53], v[12:13], off offset:1384
	v_mov_b32_e32 v20, s7
	v_add_co_u32_e32 v4, vcc, s16, v4
	v_addc_co_u32_e32 v5, vcc, v5, v20, vcc
	global_load_dwordx2 v[20:21], v[4:5], off
	global_load_dwordx2 v[50:51], v255, s[12:13] offset:1008
	v_mov_b32_e32 v22, s0
	v_add_co_u32_e32 v4, vcc, s1, v4
	v_addc_co_u32_e32 v5, vcc, v5, v22, vcc
	global_load_dwordx2 v[22:23], v[4:5], off
	global_load_dwordx2 v[48:49], v[0:1], off offset:1448
	v_mov_b32_e32 v24, s0
	v_add_co_u32_e32 v4, vcc, s1, v4
	v_addc_co_u32_e32 v5, vcc, v5, v24, vcc
	global_load_dwordx2 v[24:25], v[4:5], off
	global_load_dwordx2 v[46:47], v[12:13], off offset:1888
	v_mov_b32_e32 v26, s7
	v_add_co_u32_e32 v4, vcc, s16, v4
	v_addc_co_u32_e32 v5, vcc, v5, v26, vcc
	global_load_dwordx2 v[26:27], v[4:5], off
	global_load_dwordx2 v[42:43], v255, s[12:13] offset:1512
	v_mov_b32_e32 v28, s0
	v_add_co_u32_e32 v4, vcc, s1, v4
	v_addc_co_u32_e32 v5, vcc, v5, v28, vcc
	global_load_dwordx2 v[28:29], v[4:5], off
	global_load_dwordx2 v[38:39], v[0:1], off offset:1952
	v_mov_b32_e32 v30, s0
	v_add_co_u32_e32 v4, vcc, s1, v4
	v_addc_co_u32_e32 v5, vcc, v5, v30, vcc
	global_load_dwordx2 v[30:31], v[4:5], off
	global_load_dwordx2 v[36:37], v[12:13], off offset:2392
	v_mov_b32_e32 v32, s7
	v_add_co_u32_e32 v4, vcc, s16, v4
	v_addc_co_u32_e32 v5, vcc, v5, v32, vcc
	s_waitcnt vmcnt(22)
	v_mul_f32_e32 v34, v7, v61
	global_load_dwordx2 v[32:33], v[4:5], off
	global_load_dwordx2 v[44:45], v255, s[12:13] offset:2016
	s_load_dwordx4 s[8:11], s[2:3], 0x0
	v_fmac_f32_e32 v34, v6, v60
	v_mul_f32_e32 v6, v6, v61
	buffer_store_dword v60, off, s[20:23], 0 offset:196 ; 4-byte Folded Spill
	s_nop 0
	buffer_store_dword v61, off, s[20:23], 0 offset:200 ; 4-byte Folded Spill
	v_add_u32_e32 v145, 0x2000, v255
	v_add_co_u32_e32 v112, vcc, 63, v240
	v_addc_co_u32_e64 v113, s[2:3], 0, 0, vcc
	s_movk_i32 s2, 0x7e
	v_add_co_u32_e32 v116, vcc, s2, v240
	s_movk_i32 s2, 0xbd
	v_add_co_u32_e32 v249, vcc, s2, v240
	;; [unrolled: 2-line block ×3, first 2 shown]
	v_add_co_u32_e32 v4, vcc, s1, v4
	s_movk_i32 s2, 0x3000
	v_add_u32_e32 v125, 0x1400, v255
	v_add_u32_e32 v148, 0x2800, v255
	;; [unrolled: 1-line block ×9, first 2 shown]
	s_load_dwordx2 s[4:5], s[4:5], 0x38
	v_fma_f32 v35, v7, v60, -v6
	s_waitcnt vmcnt(23)
	v_mul_f32_e32 v6, v9, v41
	v_fmac_f32_e32 v6, v8, v40
	v_mul_f32_e32 v7, v8, v41
	buffer_store_dword v40, off, s[20:23], 0 offset:180 ; 4-byte Folded Spill
	s_nop 0
	buffer_store_dword v41, off, s[20:23], 0 offset:184 ; 4-byte Folded Spill
	s_waitcnt vmcnt(18)
	v_mul_f32_e32 v8, v15, v53
	v_fmac_f32_e32 v8, v14, v52
	v_fma_f32 v7, v9, v40, -v7
	ds_write_b64 v255, v[6:7] offset:4536
	v_mul_f32_e32 v6, v11, v57
	global_load_dwordx2 v[40:41], v[12:13], off offset:376
	v_fmac_f32_e32 v6, v10, v56
	v_mul_f32_e32 v7, v10, v57
	buffer_store_dword v56, off, s[20:23], 0 offset:148 ; 4-byte Folded Spill
	s_nop 0
	buffer_store_dword v57, off, s[20:23], 0 offset:152 ; 4-byte Folded Spill
	v_mul_f32_e32 v9, v14, v53
	s_waitcnt vmcnt(19)
	v_mul_f32_e32 v10, v21, v51
	s_waitcnt vmcnt(17)
	v_mul_f32_e32 v14, v23, v49
	v_fmac_f32_e32 v10, v20, v50
	v_fmac_f32_e32 v14, v22, v48
	v_fma_f32 v7, v11, v56, -v7
	ds_write_b64 v255, v[6:7] offset:9072
	v_mul_f32_e32 v6, v17, v59
	v_fmac_f32_e32 v6, v16, v58
	v_mul_f32_e32 v7, v16, v59
	buffer_store_dword v58, off, s[20:23], 0 offset:156 ; 4-byte Folded Spill
	s_nop 0
	buffer_store_dword v59, off, s[20:23], 0 offset:160 ; 4-byte Folded Spill
	v_mul_f32_e32 v11, v20, v51
	v_mov_b32_e32 v16, s7
	v_mov_b32_e32 v20, s0
	v_fma_f32 v7, v17, v58, -v7
	ds_write2_b64 v255, v[34:35], v[6:7] offset1:63
	v_mul_f32_e32 v6, v19, v55
	v_fmac_f32_e32 v6, v18, v54
	v_mul_f32_e32 v7, v18, v55
	buffer_store_dword v54, off, s[20:23], 0 offset:136 ; 4-byte Folded Spill
	s_nop 0
	buffer_store_dword v55, off, s[20:23], 0 offset:140 ; 4-byte Folded Spill
	buffer_store_dword v52, off, s[20:23], 0 offset:120 ; 4-byte Folded Spill
	s_nop 0
	buffer_store_dword v53, off, s[20:23], 0 offset:124 ; 4-byte Folded Spill
	;; [unrolled: 3-line block ×3, first 2 shown]
	v_mov_b32_e32 v18, s0
	v_fma_f32 v7, v19, v54, -v7
	v_fma_f32 v9, v15, v52, -v9
	v_mul_f32_e32 v15, v22, v49
	buffer_store_dword v48, off, s[20:23], 0 offset:104 ; 4-byte Folded Spill
	s_nop 0
	buffer_store_dword v49, off, s[20:23], 0 offset:108 ; 4-byte Folded Spill
	v_fma_f32 v11, v21, v50, -v11
	v_mov_b32_e32 v22, s7
	v_fma_f32 v15, v23, v48, -v15
	ds_write2_b64 v144, v[6:7], v[14:15] offset0:118 offset1:181
	s_waitcnt vmcnt(25)
	v_mul_f32_e32 v6, v25, v47
	v_fmac_f32_e32 v6, v24, v46
	v_mul_f32_e32 v7, v24, v47
	buffer_store_dword v46, off, s[20:23], 0 offset:80 ; 4-byte Folded Spill
	s_nop 0
	buffer_store_dword v47, off, s[20:23], 0 offset:84 ; 4-byte Folded Spill
	v_mov_b32_e32 v14, s0
	v_mov_b32_e32 v24, s0
	v_fma_f32 v7, v25, v46, -v7
	ds_write2_b64 v145, v[8:9], v[6:7] offset0:173 offset1:236
	s_waitcnt vmcnt(25)
	v_mul_f32_e32 v6, v27, v43
	v_fmac_f32_e32 v6, v26, v42
	v_mul_f32_e32 v7, v26, v43
	buffer_store_dword v42, off, s[20:23], 0 offset:72 ; 4-byte Folded Spill
	s_nop 0
	buffer_store_dword v43, off, s[20:23], 0 offset:76 ; 4-byte Folded Spill
	s_waitcnt vmcnt(23)
	v_mul_f32_e32 v8, v31, v37
	v_fmac_f32_e32 v8, v30, v36
	v_mul_f32_e32 v9, v30, v37
	v_mov_b32_e32 v26, s0
	v_mov_b32_e32 v30, s0
	v_fma_f32 v7, v27, v42, -v7
	ds_write2_b64 v255, v[10:11], v[6:7] offset0:126 offset1:189
	v_mul_f32_e32 v6, v29, v39
	v_fmac_f32_e32 v6, v28, v38
	v_mul_f32_e32 v7, v28, v39
	buffer_store_dword v38, off, s[20:23], 0 offset:48 ; 4-byte Folded Spill
	s_nop 0
	buffer_store_dword v39, off, s[20:23], 0 offset:52 ; 4-byte Folded Spill
	global_load_dwordx2 v[66:67], v[12:13], off offset:2896
	global_load_dwordx2 v[60:61], v[12:13], off offset:3400
	;; [unrolled: 1-line block ×3, first 2 shown]
	s_nop 0
	buffer_store_dword v36, off, s[20:23], 0 offset:32 ; 4-byte Folded Spill
	s_nop 0
	buffer_store_dword v37, off, s[20:23], 0 offset:36 ; 4-byte Folded Spill
	v_mov_b32_e32 v12, s0
	v_addc_co_u32_e32 v5, vcc, v5, v12, vcc
	global_load_dwordx2 v[64:65], v255, s[12:13] offset:2520
	global_load_dwordx2 v[56:57], v255, s[12:13] offset:3024
	global_load_dwordx2 v[48:49], v255, s[12:13] offset:3528
	global_load_dwordx2 v[12:13], v[4:5], off
	global_load_dwordx2 v[68:69], v[0:1], off offset:2456
	v_add_co_u32_e32 v4, vcc, s1, v4
	v_addc_co_u32_e32 v5, vcc, v5, v14, vcc
	global_load_dwordx2 v[14:15], v[4:5], off
	v_add_co_u32_e32 v4, vcc, s16, v4
	v_addc_co_u32_e32 v5, vcc, v5, v16, vcc
	global_load_dwordx2 v[16:17], v[4:5], off
	;; [unrolled: 3-line block ×3, first 2 shown]
	global_load_dwordx2 v[62:63], v[0:1], off offset:2960
	v_add_co_u32_e32 v4, vcc, s1, v4
	v_addc_co_u32_e32 v5, vcc, v5, v20, vcc
	global_load_dwordx2 v[20:21], v[4:5], off
	v_add_co_u32_e32 v4, vcc, s16, v4
	v_addc_co_u32_e32 v5, vcc, v5, v22, vcc
	global_load_dwordx2 v[22:23], v[4:5], off
	;; [unrolled: 3-line block ×3, first 2 shown]
	global_load_dwordx2 v[58:59], v[0:1], off offset:3464
	v_add_co_u32_e32 v4, vcc, s1, v4
	v_addc_co_u32_e32 v5, vcc, v5, v26, vcc
	global_load_dwordx2 v[26:27], v[4:5], off
	v_mov_b32_e32 v28, s7
	v_add_co_u32_e32 v4, vcc, s16, v4
	v_addc_co_u32_e32 v5, vcc, v5, v28, vcc
	s_waitcnt vmcnt(42)
	v_mul_f32_e32 v10, v33, v45
	v_fmac_f32_e32 v10, v32, v44
	v_mul_f32_e32 v11, v32, v45
	v_mov_b32_e32 v32, s7
	v_fma_f32 v7, v29, v38, -v7
	global_load_dwordx2 v[28:29], v[4:5], off
	v_add_co_u32_e32 v4, vcc, s1, v4
	v_addc_co_u32_e32 v5, vcc, v5, v30, vcc
	v_fma_f32 v9, v31, v36, -v9
	global_load_dwordx2 v[30:31], v[4:5], off
	global_load_dwordx2 v[54:55], v[0:1], off offset:3968
	v_mov_b32_e32 v1, s0
	v_add_co_u32_e32 v0, vcc, s1, v4
	v_addc_co_u32_e32 v1, vcc, v5, v1, vcc
	v_add_co_u32_e32 v2, vcc, s2, v2
	v_addc_co_u32_e32 v3, vcc, 0, v3, vcc
	global_load_dwordx2 v[4:5], v[0:1], off
	v_add_co_u32_e32 v0, vcc, s16, v0
	v_addc_co_u32_e32 v1, vcc, v1, v32, vcc
	global_load_dwordx2 v[50:51], v[2:3], off offset:312
	global_load_dwordx2 v[34:35], v[0:1], off
	global_load_dwordx2 v[46:47], v255, s[12:13] offset:4032
	v_mov_b32_e32 v32, s0
	v_add_co_u32_e32 v0, vcc, s1, v0
	v_addc_co_u32_e32 v1, vcc, v1, v32, vcc
	global_load_dwordx2 v[36:37], v[0:1], off
	v_add_co_u32_e32 v0, vcc, s1, v0
	v_addc_co_u32_e32 v1, vcc, v1, v32, vcc
	global_load_dwordx2 v[38:39], v[0:1], off
	global_load_dwordx2 v[42:43], v[2:3], off offset:816
	s_waitcnt vmcnt(19)
	v_mul_f32_e32 v0, v13, v69
	buffer_store_dword v44, off, s[20:23], 0 offset:24 ; 4-byte Folded Spill
	s_nop 0
	buffer_store_dword v45, off, s[20:23], 0 offset:28 ; 4-byte Folded Spill
	v_fmac_f32_e32 v0, v12, v68
	v_mul_f32_e32 v1, v12, v69
	buffer_store_dword v68, off, s[20:23], 0 offset:228 ; 4-byte Folded Spill
	s_nop 0
	buffer_store_dword v69, off, s[20:23], 0 offset:232 ; 4-byte Folded Spill
	s_waitcnt vmcnt(18)
	v_mul_f32_e32 v2, v21, v61
	v_fmac_f32_e32 v2, v20, v60
	v_mul_f32_e32 v3, v20, v61
	s_movk_i32 s0, 0x13b
	v_add_co_u32_e32 v126, vcc, s0, v240
	s_movk_i32 s0, 0x17a
	v_add_co_u32_e32 v134, vcc, s0, v240
	;; [unrolled: 2-line block ×4, first 2 shown]
	s_movk_i32 s0, 0xab
	v_fma_f32 v11, v33, v44, -v11
	v_fma_f32 v1, v13, v68, -v1
	ds_write2_b64 v125, v[6:7], v[0:1] offset0:116 offset1:179
	v_mul_f32_e32 v0, v15, v67
	v_fmac_f32_e32 v0, v14, v66
	v_mul_f32_e32 v1, v14, v67
	buffer_store_dword v66, off, s[20:23], 0 offset:220 ; 4-byte Folded Spill
	s_nop 0
	buffer_store_dword v67, off, s[20:23], 0 offset:224 ; 4-byte Folded Spill
	s_waitcnt vmcnt(19)
	v_mul_f32_e32 v6, v23, v57
	v_fmac_f32_e32 v6, v22, v56
	v_mul_f32_e32 v7, v22, v57
	v_fma_f32 v1, v15, v66, -v1
	ds_write2_b64 v148, v[8:9], v[0:1] offset0:43 offset1:106
	v_mul_f32_e32 v0, v17, v65
	v_fmac_f32_e32 v0, v16, v64
	v_mul_f32_e32 v1, v16, v65
	buffer_store_dword v64, off, s[20:23], 0 offset:212 ; 4-byte Folded Spill
	s_nop 0
	buffer_store_dword v65, off, s[20:23], 0 offset:216 ; 4-byte Folded Spill
	s_waitcnt vmcnt(19)
	v_mul_f32_e32 v8, v25, v59
	v_fmac_f32_e32 v8, v24, v58
	v_mul_f32_e32 v9, v24, v59
	v_fma_f32 v1, v17, v64, -v1
	ds_write2_b64 v150, v[10:11], v[0:1] offset0:124 offset1:187
	v_mul_f32_e32 v0, v19, v63
	v_fmac_f32_e32 v0, v18, v62
	v_mul_f32_e32 v1, v18, v63
	buffer_store_dword v62, off, s[20:23], 0 offset:204 ; 4-byte Folded Spill
	s_nop 0
	buffer_store_dword v63, off, s[20:23], 0 offset:208 ; 4-byte Folded Spill
	buffer_store_dword v60, off, s[20:23], 0 offset:188 ; 4-byte Folded Spill
	s_nop 0
	buffer_store_dword v61, off, s[20:23], 0 offset:192 ; 4-byte Folded Spill
	;; [unrolled: 3-line block ×4, first 2 shown]
	v_fma_f32 v1, v19, v62, -v1
	v_fma_f32 v3, v21, v60, -v3
	;; [unrolled: 1-line block ×4, first 2 shown]
	ds_write2_b64 v149, v[0:1], v[8:9] offset0:114 offset1:177
	s_waitcnt vmcnt(26)
	v_mul_f32_e32 v0, v27, v53
	v_fmac_f32_e32 v0, v26, v52
	v_mul_f32_e32 v1, v26, v53
	buffer_store_dword v52, off, s[20:23], 0 offset:88 ; 4-byte Folded Spill
	s_nop 0
	buffer_store_dword v53, off, s[20:23], 0 offset:92 ; 4-byte Folded Spill
	v_fma_f32 v1, v27, v52, -v1
	ds_write2_b64 v148, v[2:3], v[0:1] offset0:169 offset1:232
	s_waitcnt vmcnt(27)
	v_mul_f32_e32 v0, v29, v49
	v_fmac_f32_e32 v0, v28, v48
	v_mul_f32_e32 v1, v28, v49
	buffer_store_dword v48, off, s[20:23], 0 offset:56 ; 4-byte Folded Spill
	s_nop 0
	buffer_store_dword v49, off, s[20:23], 0 offset:60 ; 4-byte Folded Spill
	s_waitcnt vmcnt(25)
	v_mul_f32_e32 v2, v5, v51
	v_fmac_f32_e32 v2, v4, v50
	v_mul_f32_e32 v3, v4, v51
	s_waitcnt vmcnt(23)
	v_mul_f32_e32 v4, v35, v47
	v_fmac_f32_e32 v4, v34, v46
	v_fma_f32 v1, v29, v48, -v1
	ds_write2_b64 v220, v[6:7], v[0:1] offset0:122 offset1:185
	v_mul_f32_e32 v0, v31, v55
	v_fmac_f32_e32 v0, v30, v54
	v_mul_f32_e32 v1, v30, v55
	buffer_store_dword v54, off, s[20:23], 0 offset:96 ; 4-byte Folded Spill
	s_nop 0
	buffer_store_dword v55, off, s[20:23], 0 offset:100 ; 4-byte Folded Spill
	buffer_store_dword v50, off, s[20:23], 0 offset:64 ; 4-byte Folded Spill
	s_nop 0
	buffer_store_dword v51, off, s[20:23], 0 offset:68 ; 4-byte Folded Spill
	v_fma_f32 v1, v31, v54, -v1
	v_fma_f32 v3, v5, v50, -v3
	v_mul_f32_e32 v5, v34, v47
	buffer_store_dword v46, off, s[20:23], 0 offset:40 ; 4-byte Folded Spill
	s_nop 0
	buffer_store_dword v47, off, s[20:23], 0 offset:44 ; 4-byte Folded Spill
	v_fma_f32 v5, v35, v46, -v5
	ds_write_b64 v255, v[4:5] offset:4032
	s_waitcnt vmcnt(28)
	v_mul_f32_e32 v4, v37, v41
	v_fmac_f32_e32 v4, v36, v40
	v_mul_f32_e32 v5, v36, v41
	buffer_store_dword v40, off, s[20:23], 0 offset:8 ; 4-byte Folded Spill
	s_nop 0
	buffer_store_dword v41, off, s[20:23], 0 offset:12 ; 4-byte Folded Spill
	v_fma_f32 v5, v37, v40, -v5
	ds_write2_b64 v146, v[0:1], v[4:5] offset0:112 offset1:175
	s_waitcnt vmcnt(28)
	v_mul_f32_e32 v0, v39, v43
	v_fmac_f32_e32 v0, v38, v42
	v_mul_f32_e32 v1, v38, v43
	buffer_store_dword v42, off, s[20:23], 0 offset:16 ; 4-byte Folded Spill
	s_nop 0
	buffer_store_dword v43, off, s[20:23], 0 offset:20 ; 4-byte Folded Spill
	v_add_u32_e32 v4, 0x3000, v255
	v_fma_f32 v1, v39, v42, -v1
	ds_write2_b64 v4, v[2:3], v[0:1] offset0:39 offset1:102
	s_waitcnt lgkmcnt(0)
	; wave barrier
	s_waitcnt lgkmcnt(0)
	ds_read2_b64 v[0:3], v255 offset1:63
	ds_read2_b64 v[4:7], v147 offset0:120 offset1:183
	ds_read2_b64 v[8:11], v145 offset0:110 offset1:173
	;; [unrolled: 1-line block ×12, first 2 shown]
	ds_read_b64 v[52:53], v255 offset:13104
	s_waitcnt lgkmcnt(11)
	v_add_f32_e32 v55, v6, v8
	v_add_f32_e32 v54, v0, v6
	v_fma_f32 v0, -0.5, v55, v0
	v_sub_f32_e32 v55, v7, v9
	v_mov_b32_e32 v56, v0
	v_fmac_f32_e32 v56, 0x3f5db3d7, v55
	v_fmac_f32_e32 v0, 0xbf5db3d7, v55
	v_add_f32_e32 v55, v1, v7
	v_add_f32_e32 v7, v7, v9
	v_fma_f32 v1, -0.5, v7, v1
	v_sub_f32_e32 v6, v6, v8
	v_mov_b32_e32 v57, v1
	s_waitcnt lgkmcnt(10)
	v_add_f32_e32 v7, v12, v10
	v_fmac_f32_e32 v57, 0xbf5db3d7, v6
	v_fmac_f32_e32 v1, 0x3f5db3d7, v6
	v_add_f32_e32 v6, v2, v12
	v_fma_f32 v2, -0.5, v7, v2
	v_add_f32_e32 v54, v54, v8
	v_sub_f32_e32 v7, v13, v11
	v_mov_b32_e32 v8, v2
	v_add_f32_e32 v55, v55, v9
	v_fmac_f32_e32 v8, 0x3f5db3d7, v7
	v_fmac_f32_e32 v2, 0xbf5db3d7, v7
	v_add_f32_e32 v7, v3, v13
	v_add_f32_e32 v9, v13, v11
	v_add_f32_e32 v7, v7, v11
	v_fmac_f32_e32 v3, -0.5, v9
	s_waitcnt lgkmcnt(8)
	v_add_f32_e32 v11, v14, v20
	v_add_f32_e32 v6, v6, v10
	v_sub_f32_e32 v10, v12, v10
	v_mov_b32_e32 v9, v3
	v_fma_f32 v12, -0.5, v11, v16
	v_add_f32_e32 v13, v15, v21
	v_fmac_f32_e32 v9, 0xbf5db3d7, v10
	v_fmac_f32_e32 v3, 0x3f5db3d7, v10
	v_add_f32_e32 v10, v16, v14
	v_sub_f32_e32 v11, v15, v21
	v_mov_b32_e32 v16, v12
	v_fma_f32 v13, -0.5, v13, v17
	v_fmac_f32_e32 v16, 0x3f5db3d7, v11
	v_fmac_f32_e32 v12, 0xbf5db3d7, v11
	v_add_f32_e32 v11, v17, v15
	v_sub_f32_e32 v14, v14, v20
	v_mov_b32_e32 v17, v13
	s_waitcnt lgkmcnt(7)
	v_add_f32_e32 v15, v24, v22
	v_fmac_f32_e32 v17, 0xbf5db3d7, v14
	v_fmac_f32_e32 v13, 0x3f5db3d7, v14
	v_add_f32_e32 v14, v18, v24
	v_fma_f32 v18, -0.5, v15, v18
	v_add_f32_e32 v10, v10, v20
	v_sub_f32_e32 v15, v25, v23
	v_mov_b32_e32 v20, v18
	v_add_f32_e32 v11, v11, v21
	v_fmac_f32_e32 v20, 0x3f5db3d7, v15
	v_fmac_f32_e32 v18, 0xbf5db3d7, v15
	v_add_f32_e32 v15, v19, v25
	v_add_f32_e32 v21, v25, v23
	v_add_f32_e32 v15, v15, v23
	v_fmac_f32_e32 v19, -0.5, v21
	s_waitcnt lgkmcnt(5)
	v_add_f32_e32 v23, v26, v32
	v_add_f32_e32 v14, v14, v22
	v_sub_f32_e32 v22, v24, v22
	v_mov_b32_e32 v21, v19
	v_fma_f32 v24, -0.5, v23, v28
	v_add_f32_e32 v25, v27, v33
	v_fmac_f32_e32 v21, 0xbf5db3d7, v22
	v_fmac_f32_e32 v19, 0x3f5db3d7, v22
	v_add_f32_e32 v22, v28, v26
	v_sub_f32_e32 v23, v27, v33
	v_mov_b32_e32 v28, v24
	v_fma_f32 v25, -0.5, v25, v29
	v_fmac_f32_e32 v28, 0x3f5db3d7, v23
	v_fmac_f32_e32 v24, 0xbf5db3d7, v23
	v_add_f32_e32 v23, v29, v27
	;; [unrolled: 34-line block ×3, first 2 shown]
	v_sub_f32_e32 v38, v38, v44
	v_mov_b32_e32 v41, v37
	s_waitcnt lgkmcnt(1)
	v_add_f32_e32 v39, v48, v46
	v_fmac_f32_e32 v41, 0xbf5db3d7, v38
	v_fmac_f32_e32 v37, 0x3f5db3d7, v38
	v_add_f32_e32 v38, v42, v48
	v_fma_f32 v42, -0.5, v39, v42
	v_add_f32_e32 v34, v34, v44
	v_add_f32_e32 v35, v35, v45
	v_sub_f32_e32 v39, v49, v47
	v_mov_b32_e32 v44, v42
	v_add_f32_e32 v45, v49, v47
	v_fmac_f32_e32 v44, 0x3f5db3d7, v39
	v_fmac_f32_e32 v42, 0xbf5db3d7, v39
	v_add_f32_e32 v39, v43, v49
	v_fmac_f32_e32 v43, -0.5, v45
	v_add_f32_e32 v38, v38, v46
	v_add_f32_e32 v39, v39, v47
	v_sub_f32_e32 v46, v48, v46
	v_mov_b32_e32 v45, v43
	s_waitcnt lgkmcnt(0)
	v_add_f32_e32 v47, v50, v52
	v_fmac_f32_e32 v45, 0xbf5db3d7, v46
	v_fmac_f32_e32 v43, 0x3f5db3d7, v46
	v_add_f32_e32 v46, v4, v50
	v_fma_f32 v4, -0.5, v47, v4
	v_sub_f32_e32 v47, v51, v53
	v_mov_b32_e32 v48, v4
	v_add_f32_e32 v49, v51, v53
	v_fmac_f32_e32 v48, 0x3f5db3d7, v47
	v_fmac_f32_e32 v4, 0xbf5db3d7, v47
	v_add_f32_e32 v47, v5, v51
	v_fmac_f32_e32 v5, -0.5, v49
	v_sub_f32_e32 v50, v50, v52
	v_mov_b32_e32 v49, v5
	v_fmac_f32_e32 v49, 0xbf5db3d7, v50
	v_fmac_f32_e32 v5, 0x3f5db3d7, v50
	v_mul_lo_u16_e32 v50, 3, v240
	v_lshlrev_b32_e32 v50, 3, v50
	s_waitcnt lgkmcnt(0)
	; wave barrier
	ds_write_b64 v50, v[0:1] offset:16
	v_mul_u32_u24_e32 v0, 3, v112
	v_lshlrev_b32_e32 v0, 3, v0
	ds_write2_b64 v50, v[54:55], v[56:57] offset1:1
	ds_write2_b64 v0, v[6:7], v[8:9] offset1:1
	buffer_store_dword v0, off, s[20:23], 0 offset:300 ; 4-byte Folded Spill
	ds_write_b64 v0, v[2:3] offset:16
	v_mul_u32_u24_e32 v0, 3, v116
	v_lshlrev_b32_e32 v0, 3, v0
	ds_write2_b64 v0, v[10:11], v[16:17] offset1:1
	buffer_store_dword v0, off, s[20:23], 0 offset:236 ; 4-byte Folded Spill
	ds_write_b64 v0, v[12:13] offset:16
	v_mul_u32_u24_e32 v0, 3, v249
	v_lshlrev_b32_e32 v0, 3, v0
	;; [unrolled: 5-line block ×6, first 2 shown]
	ds_write2_b64 v0, v[38:39], v[44:45] offset1:1
	buffer_store_dword v0, off, s[20:23], 0 offset:256 ; 4-byte Folded Spill
	ds_write_b64 v0, v[42:43] offset:16
	v_mul_u32_u24_e32 v0, 3, v132
	v_add_f32_e32 v46, v46, v52
	v_add_f32_e32 v47, v47, v53
	v_lshlrev_b32_e32 v0, 3, v0
	ds_write2_b64 v0, v[46:47], v[48:49] offset1:1
	buffer_store_dword v0, off, s[20:23], 0 offset:260 ; 4-byte Folded Spill
	ds_write_b64 v0, v[4:5] offset:16
	v_mul_lo_u16_sdwa v0, v240, s0 dst_sel:DWORD dst_unused:UNUSED_PAD src0_sel:BYTE_0 src1_sel:DWORD
	v_lshrrev_b16_e32 v90, 9, v0
	v_mul_lo_u16_e32 v0, 3, v90
	v_sub_u16_e32 v0, v240, v0
	v_mul_lo_u16_sdwa v4, v112, s0 dst_sel:DWORD dst_unused:UNUSED_PAD src0_sel:BYTE_0 src1_sel:DWORD
	v_and_b32_e32 v91, 0xff, v0
	v_lshrrev_b16_e32 v92, 9, v4
	v_lshlrev_b32_e32 v0, 4, v91
	v_mul_lo_u16_e32 v4, 3, v92
	buffer_store_dword v50, off, s[20:23], 0 offset:304 ; 4-byte Folded Spill
	s_waitcnt lgkmcnt(0)
	; wave barrier
	s_waitcnt lgkmcnt(0)
	global_load_dwordx4 v[0:3], v0, s[14:15]
	v_sub_u16_e32 v4, v112, v4
	v_and_b32_e32 v93, 0xff, v4
	v_lshlrev_b32_e32 v4, 4, v93
	global_load_dwordx4 v[4:7], v4, s[14:15]
	v_mul_lo_u16_sdwa v8, v116, s0 dst_sel:DWORD dst_unused:UNUSED_PAD src0_sel:BYTE_0 src1_sel:DWORD
	v_lshrrev_b16_e32 v94, 9, v8
	v_mul_lo_u16_e32 v8, 3, v94
	v_mul_lo_u16_sdwa v12, v249, s0 dst_sel:DWORD dst_unused:UNUSED_PAD src0_sel:BYTE_0 src1_sel:DWORD
	v_sub_u16_e32 v8, v116, v8
	v_lshrrev_b16_e32 v96, 9, v12
	s_mov_b32 s0, 0xaaab
	v_and_b32_e32 v95, 0xff, v8
	v_mul_lo_u16_e32 v12, 3, v96
	v_mul_u32_u24_sdwa v16, v124, s0 dst_sel:DWORD dst_unused:UNUSED_PAD src0_sel:WORD_0 src1_sel:DWORD
	v_lshlrev_b32_e32 v8, 4, v95
	v_sub_u16_e32 v12, v249, v12
	v_lshrrev_b32_e32 v98, 17, v16
	global_load_dwordx4 v[8:11], v8, s[14:15]
	v_and_b32_e32 v97, 0xff, v12
	v_mul_lo_u16_e32 v16, 3, v98
	v_mul_u32_u24_sdwa v20, v126, s0 dst_sel:DWORD dst_unused:UNUSED_PAD src0_sel:WORD_0 src1_sel:DWORD
	v_lshlrev_b32_e32 v12, 4, v97
	global_load_dwordx4 v[12:15], v12, s[14:15]
	v_sub_u16_e32 v99, v124, v16
	v_lshrrev_b32_e32 v100, 17, v20
	v_lshlrev_b16_e32 v16, 1, v99
	v_mul_lo_u16_e32 v20, 3, v100
	v_mul_u32_u24_sdwa v24, v134, s0 dst_sel:DWORD dst_unused:UNUSED_PAD src0_sel:WORD_0 src1_sel:DWORD
	v_lshlrev_b32_e32 v16, 3, v16
	v_sub_u16_e32 v101, v126, v20
	v_lshrrev_b32_e32 v102, 17, v24
	global_load_dwordx4 v[16:19], v16, s[14:15]
	v_lshlrev_b16_e32 v20, 1, v101
	v_mul_lo_u16_e32 v24, 3, v102
	v_mul_u32_u24_sdwa v28, v133, s0 dst_sel:DWORD dst_unused:UNUSED_PAD src0_sel:WORD_0 src1_sel:DWORD
	v_lshlrev_b32_e32 v20, 3, v20
	global_load_dwordx4 v[20:23], v20, s[14:15]
	v_sub_u16_e32 v103, v134, v24
	v_lshrrev_b32_e32 v104, 17, v28
	v_lshlrev_b16_e32 v24, 1, v103
	v_mul_lo_u16_e32 v28, 3, v104
	v_mul_u32_u24_sdwa v32, v132, s0 dst_sel:DWORD dst_unused:UNUSED_PAD src0_sel:WORD_0 src1_sel:DWORD
	v_lshlrev_b32_e32 v24, 3, v24
	v_sub_u16_e32 v105, v133, v28
	v_lshrrev_b32_e32 v106, 17, v32
	global_load_dwordx4 v[24:27], v24, s[14:15]
	v_lshlrev_b16_e32 v28, 1, v105
	v_mul_lo_u16_e32 v32, 3, v106
	v_lshlrev_b32_e32 v28, 3, v28
	global_load_dwordx4 v[28:31], v28, s[14:15]
	v_sub_u16_e32 v107, v132, v32
	v_lshlrev_b16_e32 v32, 1, v107
	v_lshlrev_b32_e32 v32, 3, v32
	global_load_dwordx4 v[32:35], v32, s[14:15]
	ds_read2_b64 v[36:39], v255 offset1:63
	ds_read2_b64 v[40:43], v147 offset0:120 offset1:183
	ds_read2_b64 v[44:47], v145 offset0:110 offset1:173
	;; [unrolled: 1-line block ×12, first 2 shown]
	ds_read_b64 v[88:89], v255 offset:13104
	v_mul_u32_u24_e32 v90, 9, v90
	v_add_lshl_u32 v90, v90, v91, 3
	s_mov_b32 s0, 0xe38f
	s_waitcnt vmcnt(8) lgkmcnt(12)
	v_mul_f32_e32 v108, v43, v1
	v_fma_f32 v108, v42, v0, -v108
	v_mul_f32_e32 v109, v42, v1
	s_waitcnt lgkmcnt(11)
	v_mul_f32_e32 v42, v45, v3
	v_fmac_f32_e32 v109, v43, v0
	v_fma_f32 v110, v44, v2, -v42
	v_mul_f32_e32 v111, v44, v3
	buffer_store_dword v0, off, s[20:23], 0 offset:388 ; 4-byte Folded Spill
	s_nop 0
	buffer_store_dword v1, off, s[20:23], 0 offset:392 ; 4-byte Folded Spill
	buffer_store_dword v2, off, s[20:23], 0 offset:396 ; 4-byte Folded Spill
	;; [unrolled: 1-line block ×3, first 2 shown]
	s_waitcnt vmcnt(11) lgkmcnt(10)
	v_mul_f32_e32 v42, v49, v5
	v_fma_f32 v114, v48, v4, -v42
	v_mul_f32_e32 v115, v48, v5
	v_mul_f32_e32 v42, v47, v7
	v_fmac_f32_e32 v115, v49, v4
	v_fma_f32 v49, v46, v6, -v42
	v_mul_f32_e32 v117, v46, v7
	buffer_store_dword v4, off, s[20:23], 0 offset:404 ; 4-byte Folded Spill
	s_nop 0
	buffer_store_dword v5, off, s[20:23], 0 offset:408 ; 4-byte Folded Spill
	buffer_store_dword v6, off, s[20:23], 0 offset:412 ; 4-byte Folded Spill
	;; [unrolled: 1-line block ×3, first 2 shown]
	v_add_f32_e32 v43, v108, v110
	v_sub_f32_e32 v46, v108, v110
	s_waitcnt vmcnt(14)
	v_mul_f32_e32 v42, v51, v9
	v_fma_f32 v118, v50, v8, -v42
	s_waitcnt lgkmcnt(8)
	v_mul_f32_e32 v42, v57, v11
	v_fma_f32 v120, v56, v10, -v42
	v_mul_f32_e32 v119, v50, v9
	s_waitcnt vmcnt(13) lgkmcnt(7)
	v_mul_f32_e32 v42, v61, v13
	v_fma_f32 v122, v60, v12, -v42
	v_mul_f32_e32 v123, v60, v13
	v_mul_f32_e32 v42, v59, v15
	v_fmac_f32_e32 v123, v61, v12
	v_fma_f32 v61, v58, v14, -v42
	v_fmac_f32_e32 v119, v51, v8
	v_mul_f32_e32 v121, v56, v11
	v_add_f32_e32 v51, v118, v120
	s_waitcnt vmcnt(12)
	v_mul_f32_e32 v42, v63, v17
	v_fma_f32 v128, v62, v16, -v42
	s_waitcnt lgkmcnt(5)
	v_mul_f32_e32 v42, v69, v19
	v_fma_f32 v130, v68, v18, -v42
	v_fmac_f32_e32 v121, v57, v10
	s_waitcnt vmcnt(11) lgkmcnt(4)
	v_mul_f32_e32 v42, v73, v21
	v_fma_f32 v135, v72, v20, -v42
	v_mul_f32_e32 v136, v72, v21
	v_mul_f32_e32 v42, v71, v23
	v_fmac_f32_e32 v136, v73, v20
	v_fma_f32 v73, v70, v22, -v42
	v_add_f32_e32 v57, v119, v121
	v_mul_f32_e32 v127, v58, v15
	v_fmac_f32_e32 v127, v59, v14
	s_waitcnt vmcnt(10)
	v_mul_f32_e32 v42, v75, v25
	v_fma_f32 v138, v74, v24, -v42
	s_waitcnt lgkmcnt(2)
	v_mul_f32_e32 v42, v81, v27
	v_fma_f32 v140, v80, v26, -v42
	s_waitcnt vmcnt(9) lgkmcnt(1)
	v_mul_f32_e32 v42, v85, v29
	v_fma_f32 v142, v84, v28, -v42
	v_mul_f32_e32 v143, v84, v29
	v_mul_f32_e32 v42, v83, v31
	v_fmac_f32_e32 v143, v85, v28
	v_fma_f32 v85, v82, v30, -v42
	s_waitcnt vmcnt(8)
	v_mul_f32_e32 v42, v87, v33
	v_fma_f32 v153, v86, v32, -v42
	s_waitcnt lgkmcnt(0)
	v_mul_f32_e32 v42, v89, v35
	v_fma_f32 v155, v88, v34, -v42
	v_add_f32_e32 v42, v36, v108
	v_fma_f32 v36, -0.5, v43, v36
	v_mov_b32_e32 v44, v36
	v_sub_f32_e32 v58, v118, v120
	v_add_f32_e32 v59, v122, v61
	v_mul_f32_e32 v129, v62, v17
	v_add_f32_e32 v62, v123, v127
	v_fmac_f32_e32 v129, v63, v16
	v_mul_f32_e32 v131, v68, v19
	v_add_f32_e32 v63, v128, v130
	v_fmac_f32_e32 v131, v69, v18
	v_add_f32_e32 v69, v129, v131
	v_mul_f32_e32 v137, v70, v23
	v_fmac_f32_e32 v137, v71, v22
	v_sub_f32_e32 v70, v128, v130
	v_add_f32_e32 v71, v135, v73
	v_mul_f32_e32 v139, v74, v25
	v_add_f32_e32 v74, v136, v137
	s_waitcnt lgkmcnt(0)
	; wave barrier
	v_add_f32_e32 v42, v42, v110
	v_fmac_f32_e32 v139, v75, v24
	v_mul_f32_e32 v141, v80, v27
	v_add_f32_e32 v75, v138, v140
	v_fmac_f32_e32 v111, v45, v2
	v_sub_f32_e32 v43, v109, v111
	v_add_f32_e32 v45, v109, v111
	v_fmac_f32_e32 v44, 0x3f5db3d7, v43
	v_fmac_f32_e32 v36, 0xbf5db3d7, v43
	v_add_f32_e32 v43, v37, v109
	v_fma_f32 v37, -0.5, v45, v37
	v_mov_b32_e32 v45, v37
	v_fmac_f32_e32 v117, v47, v6
	v_add_f32_e32 v47, v114, v49
	v_fmac_f32_e32 v45, 0xbf5db3d7, v46
	v_fmac_f32_e32 v37, 0x3f5db3d7, v46
	v_add_f32_e32 v46, v38, v114
	v_fma_f32 v38, -0.5, v47, v38
	v_sub_f32_e32 v47, v115, v117
	v_mov_b32_e32 v48, v38
	v_add_f32_e32 v50, v115, v117
	v_fmac_f32_e32 v48, 0x3f5db3d7, v47
	v_fmac_f32_e32 v38, 0xbf5db3d7, v47
	v_add_f32_e32 v47, v39, v115
	v_fmac_f32_e32 v39, -0.5, v50
	v_add_f32_e32 v46, v46, v49
	v_sub_f32_e32 v50, v114, v49
	v_mov_b32_e32 v49, v39
	v_fmac_f32_e32 v49, 0xbf5db3d7, v50
	v_fmac_f32_e32 v39, 0x3f5db3d7, v50
	v_add_f32_e32 v50, v52, v118
	v_fma_f32 v52, -0.5, v51, v52
	v_sub_f32_e32 v51, v119, v121
	v_mov_b32_e32 v56, v52
	v_fmac_f32_e32 v56, 0x3f5db3d7, v51
	v_fmac_f32_e32 v52, 0xbf5db3d7, v51
	v_add_f32_e32 v51, v53, v119
	v_fma_f32 v53, -0.5, v57, v53
	v_mov_b32_e32 v57, v53
	v_fmac_f32_e32 v57, 0xbf5db3d7, v58
	v_fmac_f32_e32 v53, 0x3f5db3d7, v58
	v_add_f32_e32 v58, v54, v122
	v_fma_f32 v54, -0.5, v59, v54
	v_sub_f32_e32 v59, v123, v127
	v_mov_b32_e32 v60, v54
	v_fmac_f32_e32 v60, 0x3f5db3d7, v59
	v_fmac_f32_e32 v54, 0xbf5db3d7, v59
	v_add_f32_e32 v59, v55, v123
	v_fmac_f32_e32 v55, -0.5, v62
	v_add_f32_e32 v58, v58, v61
	v_sub_f32_e32 v62, v122, v61
	v_mov_b32_e32 v61, v55
	v_fmac_f32_e32 v61, 0xbf5db3d7, v62
	v_fmac_f32_e32 v55, 0x3f5db3d7, v62
	v_add_f32_e32 v62, v64, v128
	v_fma_f32 v64, -0.5, v63, v64
	v_sub_f32_e32 v63, v129, v131
	v_mov_b32_e32 v68, v64
	v_fmac_f32_e32 v68, 0x3f5db3d7, v63
	v_fmac_f32_e32 v64, 0xbf5db3d7, v63
	v_add_f32_e32 v63, v65, v129
	v_fma_f32 v65, -0.5, v69, v65
	v_mov_b32_e32 v69, v65
	v_fmac_f32_e32 v69, 0xbf5db3d7, v70
	v_fmac_f32_e32 v65, 0x3f5db3d7, v70
	v_add_f32_e32 v70, v66, v135
	v_fma_f32 v66, -0.5, v71, v66
	v_sub_f32_e32 v71, v136, v137
	v_mov_b32_e32 v72, v66
	ds_write_b64 v90, v[36:37] offset:48
	v_mul_u32_u24_e32 v36, 9, v92
	v_add_f32_e32 v43, v43, v111
	v_add_f32_e32 v47, v47, v117
	v_fmac_f32_e32 v72, 0x3f5db3d7, v71
	v_fmac_f32_e32 v66, 0xbf5db3d7, v71
	v_add_f32_e32 v71, v67, v136
	v_fmac_f32_e32 v67, -0.5, v74
	v_add_lshl_u32 v36, v36, v93, 3
	v_add_f32_e32 v70, v70, v73
	v_sub_f32_e32 v74, v135, v73
	v_mov_b32_e32 v73, v67
	ds_write2_b64 v90, v[42:43], v[44:45] offset1:3
	ds_write2_b64 v36, v[46:47], v[48:49] offset1:3
	buffer_store_dword v36, off, s[20:23], 0 offset:268 ; 4-byte Folded Spill
	ds_write_b64 v36, v[38:39] offset:48
	v_mul_u32_u24_e32 v36, 9, v94
	v_fmac_f32_e32 v141, v81, v26
	v_add_f32_e32 v50, v50, v120
	v_add_f32_e32 v51, v51, v121
	v_fmac_f32_e32 v73, 0xbf5db3d7, v74
	v_fmac_f32_e32 v67, 0x3f5db3d7, v74
	v_add_f32_e32 v74, v76, v138
	v_fma_f32 v76, -0.5, v75, v76
	v_add_lshl_u32 v36, v36, v95, 3
	v_sub_f32_e32 v75, v139, v141
	v_mov_b32_e32 v80, v76
	v_add_f32_e32 v81, v139, v141
	ds_write2_b64 v36, v[50:51], v[56:57] offset1:3
	buffer_store_dword v36, off, s[20:23], 0 offset:272 ; 4-byte Folded Spill
	ds_write_b64 v36, v[52:53] offset:48
	v_mul_u32_u24_e32 v36, 9, v96
	v_mul_f32_e32 v152, v82, v31
	v_add_f32_e32 v59, v59, v127
	v_fmac_f32_e32 v80, 0x3f5db3d7, v75
	v_fmac_f32_e32 v76, 0xbf5db3d7, v75
	v_add_f32_e32 v75, v77, v139
	v_fma_f32 v77, -0.5, v81, v77
	v_add_lshl_u32 v36, v36, v97, 3
	v_fmac_f32_e32 v152, v83, v30
	v_sub_f32_e32 v82, v138, v140
	v_mov_b32_e32 v81, v77
	v_add_f32_e32 v83, v142, v85
	ds_write2_b64 v36, v[58:59], v[60:61] offset1:3
	buffer_store_dword v36, off, s[20:23], 0 offset:276 ; 4-byte Folded Spill
	ds_write_b64 v36, v[54:55] offset:48
	v_mad_legacy_u16 v36, v98, 9, v99
	v_add_f32_e32 v62, v62, v130
	v_add_f32_e32 v63, v63, v131
	v_fmac_f32_e32 v81, 0xbf5db3d7, v82
	v_fmac_f32_e32 v77, 0x3f5db3d7, v82
	v_add_f32_e32 v82, v78, v142
	v_fma_f32 v78, -0.5, v83, v78
	v_lshlrev_b32_e32 v36, 3, v36
	v_mul_f32_e32 v154, v86, v33
	v_sub_f32_e32 v83, v143, v152
	v_mov_b32_e32 v84, v78
	v_add_f32_e32 v86, v143, v152
	ds_write2_b64 v36, v[62:63], v[68:69] offset1:3
	buffer_store_dword v36, off, s[20:23], 0 offset:280 ; 4-byte Folded Spill
	ds_write_b64 v36, v[64:65] offset:48
	v_mad_legacy_u16 v36, v100, 9, v101
	v_add_f32_e32 v71, v71, v137
	v_fmac_f32_e32 v84, 0x3f5db3d7, v83
	v_fmac_f32_e32 v78, 0xbf5db3d7, v83
	v_add_f32_e32 v83, v79, v143
	v_fmac_f32_e32 v79, -0.5, v86
	v_lshlrev_b32_e32 v36, 3, v36
	v_fmac_f32_e32 v154, v87, v32
	v_mul_f32_e32 v157, v88, v35
	v_add_f32_e32 v82, v82, v85
	v_sub_f32_e32 v86, v142, v85
	v_mov_b32_e32 v85, v79
	v_add_f32_e32 v87, v153, v155
	ds_write2_b64 v36, v[70:71], v[72:73] offset1:3
	buffer_store_dword v36, off, s[20:23], 0 offset:284 ; 4-byte Folded Spill
	ds_write_b64 v36, v[66:67] offset:48
	v_mad_legacy_u16 v36, v102, 9, v103
	v_fmac_f32_e32 v157, v89, v34
	v_add_f32_e32 v74, v74, v140
	v_add_f32_e32 v75, v75, v141
	v_fmac_f32_e32 v85, 0xbf5db3d7, v86
	v_fmac_f32_e32 v79, 0x3f5db3d7, v86
	v_add_f32_e32 v86, v40, v153
	v_fma_f32 v40, -0.5, v87, v40
	v_lshlrev_b32_e32 v36, 3, v36
	v_sub_f32_e32 v87, v154, v157
	v_mov_b32_e32 v88, v40
	v_add_f32_e32 v89, v154, v157
	ds_write2_b64 v36, v[74:75], v[80:81] offset1:3
	buffer_store_dword v36, off, s[20:23], 0 offset:288 ; 4-byte Folded Spill
	ds_write_b64 v36, v[76:77] offset:48
	v_mad_legacy_u16 v36, v104, 9, v105
	v_add_f32_e32 v83, v83, v152
	v_fmac_f32_e32 v88, 0x3f5db3d7, v87
	v_fmac_f32_e32 v40, 0xbf5db3d7, v87
	v_add_f32_e32 v87, v41, v154
	v_fmac_f32_e32 v41, -0.5, v89
	v_lshlrev_b32_e32 v36, 3, v36
	v_sub_f32_e32 v108, v153, v155
	v_mov_b32_e32 v89, v41
	ds_write2_b64 v36, v[82:83], v[84:85] offset1:3
	buffer_store_dword v36, off, s[20:23], 0 offset:292 ; 4-byte Folded Spill
	ds_write_b64 v36, v[78:79] offset:48
	v_mad_legacy_u16 v36, v106, 9, v107
	v_add_f32_e32 v86, v86, v155
	v_add_f32_e32 v87, v87, v157
	v_fmac_f32_e32 v89, 0xbf5db3d7, v108
	v_fmac_f32_e32 v41, 0x3f5db3d7, v108
	v_lshlrev_b32_e32 v36, 3, v36
	v_mov_b32_e32 v44, 57
	ds_write2_b64 v36, v[86:87], v[88:89] offset1:3
	buffer_store_dword v36, off, s[20:23], 0 offset:296 ; 4-byte Folded Spill
	ds_write_b64 v36, v[40:41] offset:48
	v_mul_lo_u16_sdwa v36, v240, v44 dst_sel:DWORD dst_unused:UNUSED_PAD src0_sel:BYTE_0 src1_sel:DWORD
	v_mul_lo_u16_sdwa v37, v112, v44 dst_sel:DWORD dst_unused:UNUSED_PAD src0_sel:BYTE_0 src1_sel:DWORD
	v_lshrrev_b16_e32 v123, 9, v36
	v_lshrrev_b16_e32 v76, 9, v37
	v_mul_lo_u16_e32 v36, 9, v123
	v_mul_lo_u16_e32 v37, 9, v76
	v_sub_u16_e32 v36, v240, v36
	v_sub_u16_e32 v37, v112, v37
	v_and_b32_e32 v131, 0xff, v36
	v_and_b32_e32 v77, 0xff, v37
	v_mul_lo_u16_sdwa v45, v116, v44 dst_sel:DWORD dst_unused:UNUSED_PAD src0_sel:BYTE_0 src1_sel:DWORD
	v_mul_lo_u16_sdwa v44, v249, v44 dst_sel:DWORD dst_unused:UNUSED_PAD src0_sel:BYTE_0 src1_sel:DWORD
	v_lshlrev_b32_e32 v36, 4, v131
	v_lshlrev_b32_e32 v37, 4, v77
	v_lshrrev_b16_e32 v78, 9, v45
	v_lshrrev_b16_e32 v80, 9, v44
	buffer_store_dword v90, off, s[20:23], 0 offset:264 ; 4-byte Folded Spill
	s_waitcnt lgkmcnt(0)
	; wave barrier
	s_waitcnt lgkmcnt(0)
	global_load_dwordx4 v[40:43], v36, s[14:15] offset:48
	s_nop 0
	global_load_dwordx4 v[36:39], v37, s[14:15] offset:48
	v_mul_lo_u16_e32 v45, 9, v78
	v_mul_lo_u16_e32 v44, 9, v80
	v_mul_u32_u24_sdwa v52, v124, s0 dst_sel:DWORD dst_unused:UNUSED_PAD src0_sel:WORD_0 src1_sel:DWORD
	v_sub_u16_e32 v45, v116, v45
	v_sub_u16_e32 v44, v249, v44
	v_lshrrev_b32_e32 v82, 19, v52
	v_and_b32_e32 v79, 0xff, v45
	v_and_b32_e32 v81, 0xff, v44
	v_mul_lo_u16_e32 v52, 9, v82
	v_mul_u32_u24_sdwa v56, v126, s0 dst_sel:DWORD dst_unused:UNUSED_PAD src0_sel:WORD_0 src1_sel:DWORD
	v_lshlrev_b32_e32 v45, 4, v79
	v_lshlrev_b32_e32 v44, 4, v81
	v_sub_u16_e32 v83, v124, v52
	v_lshrrev_b32_e32 v84, 19, v56
	global_load_dwordx4 v[48:51], v45, s[14:15] offset:48
	s_nop 0
	global_load_dwordx4 v[44:47], v44, s[14:15] offset:48
	v_lshlrev_b16_e32 v52, 4, v83
	v_mul_lo_u16_e32 v56, 9, v84
	v_mul_u32_u24_sdwa v60, v134, s0 dst_sel:DWORD dst_unused:UNUSED_PAD src0_sel:WORD_0 src1_sel:DWORD
	v_mov_b32_e32 v135, s15
	v_add_co_u32_e32 v52, vcc, s14, v52
	v_sub_u16_e32 v85, v126, v56
	v_lshrrev_b32_e32 v86, 19, v60
	v_addc_co_u32_e32 v53, vcc, 0, v135, vcc
	v_lshlrev_b16_e32 v56, 4, v85
	v_mul_lo_u16_e32 v60, 9, v86
	v_mul_u32_u24_sdwa v64, v133, s0 dst_sel:DWORD dst_unused:UNUSED_PAD src0_sel:WORD_0 src1_sel:DWORD
	global_load_dwordx4 v[52:55], v[52:53], off offset:48
	v_add_co_u32_e32 v56, vcc, s14, v56
	v_sub_u16_e32 v87, v134, v60
	v_lshrrev_b32_e32 v88, 19, v64
	v_addc_co_u32_e32 v57, vcc, 0, v135, vcc
	global_load_dwordx4 v[56:59], v[56:57], off offset:48
	v_lshlrev_b16_e32 v60, 4, v87
	v_mul_lo_u16_e32 v64, 9, v88
	v_mul_u32_u24_sdwa v68, v132, s0 dst_sel:DWORD dst_unused:UNUSED_PAD src0_sel:WORD_0 src1_sel:DWORD
	v_add_co_u32_e32 v60, vcc, s14, v60
	v_sub_u16_e32 v89, v133, v64
	v_lshrrev_b32_e32 v90, 19, v68
	v_addc_co_u32_e32 v61, vcc, 0, v135, vcc
	v_lshlrev_b16_e32 v64, 4, v89
	v_mul_lo_u16_e32 v68, 9, v90
	global_load_dwordx4 v[60:63], v[60:61], off offset:48
	v_add_co_u32_e32 v64, vcc, s14, v64
	v_sub_u16_e32 v91, v132, v68
	v_addc_co_u32_e32 v65, vcc, 0, v135, vcc
	global_load_dwordx4 v[64:67], v[64:65], off offset:48
	v_lshlrev_b16_e32 v68, 4, v91
	v_add_co_u32_e32 v68, vcc, s14, v68
	v_addc_co_u32_e32 v69, vcc, 0, v135, vcc
	global_load_dwordx4 v[68:71], v[68:69], off offset:48
	ds_read2_b64 v[92:95], v255 offset1:63
	ds_read2_b64 v[72:75], v147 offset0:120 offset1:183
	ds_read2_b64 v[96:99], v145 offset0:110 offset1:173
	;; [unrolled: 1-line block ×11, first 2 shown]
	ds_read_b64 v[114:115], v255 offset:13104
	v_mul_lo_u16_e32 v123, 27, v123
	v_and_b32_e32 v123, 0xff, v123
	v_add_lshl_u32 v123, v123, v131, 3
	s_movk_i32 s0, 0x2f69
	s_waitcnt vmcnt(8) lgkmcnt(11)
	v_mul_f32_e32 v121, v75, v41
	v_fma_f32 v121, v74, v40, -v121
	v_mul_f32_e32 v122, v74, v41
	s_waitcnt lgkmcnt(10)
	v_mul_f32_e32 v74, v97, v43
	v_fma_f32 v161, v96, v42, -v74
	v_mul_f32_e32 v96, v96, v43
	s_waitcnt vmcnt(7) lgkmcnt(9)
	v_mul_f32_e32 v74, v101, v37
	v_fmac_f32_e32 v96, v97, v42
	v_fma_f32 v97, v100, v36, -v74
	v_mul_f32_e32 v74, v99, v39
	v_fma_f32 v163, v98, v38, -v74
	v_mul_f32_e32 v98, v98, v39
	v_fmac_f32_e32 v98, v99, v38
	v_fmac_f32_e32 v122, v75, v40
	v_add_f32_e32 v75, v121, v161
	s_waitcnt vmcnt(6)
	v_mul_f32_e32 v74, v103, v49
	v_fma_f32 v99, v102, v48, -v74
	s_waitcnt lgkmcnt(7)
	v_mul_f32_e32 v74, v109, v51
	v_fma_f32 v165, v108, v50, -v74
	s_waitcnt vmcnt(5) lgkmcnt(6)
	v_mul_f32_e32 v74, v118, v45
	v_fma_f32 v167, v117, v44, -v74
	v_mul_f32_e32 v74, v111, v47
	v_fma_f32 v169, v110, v46, -v74
	v_mul_f32_e32 v162, v100, v37
	v_fmac_f32_e32 v162, v101, v36
	v_mul_f32_e32 v164, v102, v49
	v_mul_f32_e32 v166, v108, v51
	v_fmac_f32_e32 v164, v103, v48
	v_fmac_f32_e32 v166, v109, v50
	v_mul_f32_e32 v170, v110, v47
	s_waitcnt vmcnt(4)
	v_mul_f32_e32 v74, v120, v53
	v_fma_f32 v171, v119, v52, -v74
	s_waitcnt lgkmcnt(4)
	v_mul_f32_e32 v74, v137, v55
	v_fma_f32 v173, v136, v54, -v74
	v_fmac_f32_e32 v170, v111, v46
	v_mul_f32_e32 v168, v117, v45
	v_fmac_f32_e32 v168, v118, v44
	s_waitcnt vmcnt(3) lgkmcnt(3)
	v_mul_f32_e32 v74, v141, v57
	v_fma_f32 v175, v140, v56, -v74
	v_mul_f32_e32 v176, v140, v57
	v_mul_f32_e32 v74, v139, v59
	v_fmac_f32_e32 v176, v141, v56
	v_fma_f32 v141, v138, v58, -v74
	v_mul_f32_e32 v172, v119, v53
	v_fmac_f32_e32 v172, v120, v52
	v_mul_f32_e32 v174, v136, v55
	v_fmac_f32_e32 v174, v137, v54
	;; [unrolled: 2-line block ×3, first 2 shown]
	s_waitcnt vmcnt(2)
	v_mul_f32_e32 v74, v143, v61
	v_fma_f32 v178, v142, v60, -v74
	s_waitcnt lgkmcnt(2)
	v_mul_f32_e32 v74, v153, v63
	v_fma_f32 v180, v152, v62, -v74
	v_mul_f32_e32 v179, v142, v61
	v_add_f32_e32 v142, v176, v177
	s_waitcnt vmcnt(1) lgkmcnt(1)
	v_mul_f32_e32 v74, v158, v65
	v_fma_f32 v181, v157, v64, -v74
	v_mul_f32_e32 v74, v155, v67
	v_fma_f32 v183, v154, v66, -v74
	v_fmac_f32_e32 v179, v143, v60
	v_mul_f32_e32 v143, v152, v63
	s_waitcnt vmcnt(0)
	v_mul_f32_e32 v74, v160, v69
	v_fma_f32 v185, v159, v68, -v74
	v_mul_f32_e32 v186, v159, v69
	s_waitcnt lgkmcnt(0)
	v_mul_f32_e32 v74, v115, v71
	v_fmac_f32_e32 v186, v160, v68
	v_fma_f32 v160, v114, v70, -v74
	v_add_f32_e32 v74, v92, v121
	v_fma_f32 v92, -0.5, v75, v92
	v_sub_f32_e32 v75, v122, v96
	v_mov_b32_e32 v100, v92
	v_fmac_f32_e32 v100, 0x3f5db3d7, v75
	v_fmac_f32_e32 v92, 0xbf5db3d7, v75
	v_add_f32_e32 v75, v93, v122
	v_add_f32_e32 v75, v75, v96
	v_add_f32_e32 v96, v122, v96
	v_fma_f32 v93, -0.5, v96, v93
	v_sub_f32_e32 v96, v121, v161
	v_mov_b32_e32 v101, v93
	v_fmac_f32_e32 v101, 0xbf5db3d7, v96
	v_fmac_f32_e32 v93, 0x3f5db3d7, v96
	v_add_f32_e32 v96, v94, v97
	v_add_f32_e32 v102, v96, v163
	;; [unrolled: 8-line block ×3, first 2 shown]
	v_add_f32_e32 v96, v162, v98
	v_fmac_f32_e32 v95, -0.5, v96
	v_sub_f32_e32 v96, v97, v163
	v_mov_b32_e32 v109, v95
	v_fmac_f32_e32 v109, 0xbf5db3d7, v96
	v_fmac_f32_e32 v95, 0x3f5db3d7, v96
	v_add_f32_e32 v96, v104, v99
	v_add_f32_e32 v110, v96, v165
	;; [unrolled: 1-line block ×3, first 2 shown]
	v_fma_f32 v104, -0.5, v96, v104
	v_mul_f32_e32 v187, v114, v71
	v_sub_f32_e32 v96, v164, v166
	v_mov_b32_e32 v114, v104
	v_fmac_f32_e32 v114, 0x3f5db3d7, v96
	v_fmac_f32_e32 v104, 0xbf5db3d7, v96
	v_add_f32_e32 v96, v105, v164
	v_add_f32_e32 v111, v96, v166
	;; [unrolled: 1-line block ×3, first 2 shown]
	v_fma_f32 v105, -0.5, v96, v105
	v_fmac_f32_e32 v187, v115, v70
	v_sub_f32_e32 v96, v99, v165
	v_mov_b32_e32 v115, v105
	v_fmac_f32_e32 v115, 0xbf5db3d7, v96
	v_fmac_f32_e32 v105, 0x3f5db3d7, v96
	v_add_f32_e32 v96, v106, v167
	v_add_f32_e32 v117, v96, v169
	;; [unrolled: 1-line block ×3, first 2 shown]
	v_fma_f32 v106, -0.5, v96, v106
	v_sub_f32_e32 v96, v168, v170
	v_mov_b32_e32 v119, v106
	v_fmac_f32_e32 v119, 0x3f5db3d7, v96
	v_fmac_f32_e32 v106, 0xbf5db3d7, v96
	v_add_f32_e32 v96, v107, v168
	v_add_f32_e32 v118, v96, v170
	;; [unrolled: 1-line block ×3, first 2 shown]
	v_fmac_f32_e32 v107, -0.5, v96
	v_sub_f32_e32 v96, v167, v169
	v_mov_b32_e32 v120, v107
	v_fmac_f32_e32 v120, 0xbf5db3d7, v96
	v_fmac_f32_e32 v107, 0x3f5db3d7, v96
	v_add_f32_e32 v96, v127, v171
	v_add_f32_e32 v121, v96, v173
	v_add_f32_e32 v96, v171, v173
	v_fma_f32 v127, -0.5, v96, v127
	v_sub_f32_e32 v96, v172, v174
	v_mov_b32_e32 v136, v127
	v_fmac_f32_e32 v136, 0x3f5db3d7, v96
	v_fmac_f32_e32 v127, 0xbf5db3d7, v96
	v_add_f32_e32 v96, v128, v172
	v_add_f32_e32 v122, v96, v174
	v_add_f32_e32 v96, v172, v174
	v_fma_f32 v128, -0.5, v96, v128
	;; [unrolled: 8-line block ×3, first 2 shown]
	v_sub_f32_e32 v96, v176, v177
	v_mov_b32_e32 v140, v129
	v_fmac_f32_e32 v140, 0x3f5db3d7, v96
	v_fmac_f32_e32 v129, 0xbf5db3d7, v96
	v_add_f32_e32 v96, v130, v176
	v_add_f32_e32 v139, v96, v177
	ds_read2_b64 v[96:99], v220 offset0:122 offset1:185
	v_fmac_f32_e32 v130, -0.5, v142
	v_sub_f32_e32 v142, v175, v141
	v_mov_b32_e32 v141, v130
	v_fmac_f32_e32 v141, 0xbf5db3d7, v142
	v_fmac_f32_e32 v130, 0x3f5db3d7, v142
	v_add_f32_e32 v142, v178, v180
	v_add_f32_e32 v74, v74, v161
	s_waitcnt lgkmcnt(0)
	v_fma_f32 v142, -0.5, v142, v96
	v_add_f32_e32 v96, v96, v178
	v_fmac_f32_e32 v143, v153, v62
	v_mul_f32_e32 v184, v154, v67
	v_add_f32_e32 v154, v96, v180
	v_add_f32_e32 v96, v97, v179
	s_waitcnt lgkmcnt(0)
	; wave barrier
	ds_write2_b64 v123, v[74:75], v[100:101] offset1:9
	v_mul_u32_u24_e32 v74, 27, v76
	v_fmac_f32_e32 v184, v155, v66
	v_add_f32_e32 v155, v96, v143
	v_add_f32_e32 v96, v179, v143
	v_add_lshl_u32 v74, v74, v77, 3
	v_sub_f32_e32 v153, v179, v143
	v_mov_b32_e32 v152, v142
	v_fma_f32 v143, -0.5, v96, v97
	ds_write_b64 v123, v[92:93] offset:144
	ds_write2_b64 v74, v[102:103], v[108:109] offset1:9
	buffer_store_dword v74, off, s[20:23], 0 offset:312 ; 4-byte Folded Spill
	ds_write_b64 v74, v[94:95] offset:144
	v_mul_u32_u24_e32 v74, 27, v78
	v_fmac_f32_e32 v152, 0x3f5db3d7, v153
	v_fmac_f32_e32 v142, 0xbf5db3d7, v153
	v_sub_f32_e32 v96, v178, v180
	v_mov_b32_e32 v153, v143
	v_add_lshl_u32 v74, v74, v79, 3
	v_mul_f32_e32 v182, v157, v65
	v_fmac_f32_e32 v153, 0xbf5db3d7, v96
	v_fmac_f32_e32 v143, 0x3f5db3d7, v96
	v_add_f32_e32 v96, v181, v183
	ds_write2_b64 v74, v[110:111], v[114:115] offset1:9
	buffer_store_dword v74, off, s[20:23], 0 offset:316 ; 4-byte Folded Spill
	ds_write_b64 v74, v[104:105] offset:144
	v_mul_u32_u24_e32 v74, 27, v80
	v_fmac_f32_e32 v182, v158, v64
	v_add_f32_e32 v97, v98, v181
	v_fma_f32 v98, -0.5, v96, v98
	v_add_lshl_u32 v74, v74, v81, 3
	v_sub_f32_e32 v157, v182, v184
	v_mov_b32_e32 v96, v98
	ds_write2_b64 v74, v[117:118], v[119:120] offset1:9
	buffer_store_dword v74, off, s[20:23], 0 offset:320 ; 4-byte Folded Spill
	ds_write_b64 v74, v[106:107] offset:144
	v_mad_legacy_u16 v74, v82, 27, v83
	v_fmac_f32_e32 v96, 0x3f5db3d7, v157
	v_fmac_f32_e32 v98, 0xbf5db3d7, v157
	v_add_f32_e32 v157, v97, v183
	v_add_f32_e32 v97, v99, v182
	v_lshlrev_b32_e32 v74, 3, v74
	v_add_f32_e32 v158, v97, v184
	v_add_f32_e32 v97, v182, v184
	ds_write2_b64 v74, v[121:122], v[136:137] offset1:9
	buffer_store_dword v74, off, s[20:23], 0 offset:324 ; 4-byte Folded Spill
	ds_write_b64 v74, v[127:128] offset:144
	v_mad_legacy_u16 v74, v84, 27, v85
	v_fmac_f32_e32 v99, -0.5, v97
	v_lshlrev_b32_e32 v74, 3, v74
	v_sub_f32_e32 v159, v181, v183
	v_mov_b32_e32 v97, v99
	ds_write2_b64 v74, v[138:139], v[140:141] offset1:9
	buffer_store_dword v74, off, s[20:23], 0 offset:328 ; 4-byte Folded Spill
	ds_write_b64 v74, v[129:130] offset:144
	v_mad_legacy_u16 v74, v86, 27, v87
	v_fmac_f32_e32 v97, 0xbf5db3d7, v159
	v_fmac_f32_e32 v99, 0x3f5db3d7, v159
	v_add_f32_e32 v159, v185, v160
	v_lshlrev_b32_e32 v74, 3, v74
	v_add_f32_e32 v161, v72, v185
	v_fma_f32 v72, -0.5, v159, v72
	ds_write2_b64 v74, v[154:155], v[152:153] offset1:9
	buffer_store_dword v74, off, s[20:23], 0 offset:332 ; 4-byte Folded Spill
	ds_write_b64 v74, v[142:143] offset:144
	v_mad_legacy_u16 v74, v88, 27, v89
	v_sub_f32_e32 v162, v186, v187
	v_mov_b32_e32 v159, v72
	v_add_f32_e32 v163, v186, v187
	v_lshlrev_b32_e32 v74, 3, v74
	v_fmac_f32_e32 v159, 0x3f5db3d7, v162
	v_fmac_f32_e32 v72, 0xbf5db3d7, v162
	v_add_f32_e32 v162, v73, v186
	v_fmac_f32_e32 v73, -0.5, v163
	v_sub_f32_e32 v163, v185, v160
	ds_write2_b64 v74, v[157:158], v[96:97] offset1:9
	buffer_store_dword v74, off, s[20:23], 0 offset:336 ; 4-byte Folded Spill
	ds_write_b64 v74, v[98:99] offset:144
	v_mad_legacy_u16 v74, v90, 27, v91
	v_add_f32_e32 v161, v161, v160
	v_mov_b32_e32 v160, v73
	v_fmac_f32_e32 v73, 0x3f5db3d7, v163
	v_lshlrev_b32_e32 v74, 3, v74
	v_mov_b32_e32 v80, 19
	v_add_f32_e32 v162, v162, v187
	v_fmac_f32_e32 v160, 0xbf5db3d7, v163
	ds_write_b64 v74, v[72:73] offset:144
	v_mul_lo_u16_sdwa v72, v240, v80 dst_sel:DWORD dst_unused:UNUSED_PAD src0_sel:BYTE_0 src1_sel:DWORD
	v_mul_lo_u16_sdwa v73, v112, v80 dst_sel:DWORD dst_unused:UNUSED_PAD src0_sel:BYTE_0 src1_sel:DWORD
	buffer_store_dword v123, off, s[20:23], 0 offset:308 ; 4-byte Folded Spill
	ds_write2_b64 v74, v[161:162], v[159:160] offset1:9
	v_lshrrev_b16_e32 v123, 9, v72
	v_lshrrev_b16_e32 v159, 9, v73
	v_mul_lo_u16_e32 v72, 27, v123
	v_mul_lo_u16_e32 v73, 27, v159
	v_mul_u32_u24_sdwa v88, v124, s0 dst_sel:DWORD dst_unused:UNUSED_PAD src0_sel:WORD_0 src1_sel:DWORD
	v_sub_u16_e32 v72, v240, v72
	v_sub_u16_e32 v73, v112, v73
	v_mul_lo_u16_sdwa v81, v116, v80 dst_sel:DWORD dst_unused:UNUSED_PAD src0_sel:BYTE_0 src1_sel:DWORD
	v_mul_lo_u16_sdwa v80, v249, v80 dst_sel:DWORD dst_unused:UNUSED_PAD src0_sel:BYTE_0 src1_sel:DWORD
	v_sub_u16_sdwa v89, v124, v88 dst_sel:DWORD dst_unused:UNUSED_PAD src0_sel:DWORD src1_sel:WORD_1
	v_and_b32_e32 v131, 0xff, v72
	v_and_b32_e32 v160, 0xff, v73
	v_lshrrev_b16_e32 v161, 9, v81
	v_lshrrev_b16_e32 v163, 9, v80
	;; [unrolled: 1-line block ×3, first 2 shown]
	v_mul_u32_u24_sdwa v92, v126, s0 dst_sel:DWORD dst_unused:UNUSED_PAD src0_sel:WORD_0 src1_sel:DWORD
	v_lshlrev_b32_e32 v72, 4, v131
	v_lshlrev_b32_e32 v73, 4, v160
	v_mul_lo_u16_e32 v81, 27, v161
	v_mul_lo_u16_e32 v80, 27, v163
	v_add_u16_sdwa v88, v89, v88 dst_sel:DWORD dst_unused:UNUSED_PAD src0_sel:DWORD src1_sel:WORD_1
	v_sub_u16_sdwa v93, v126, v92 dst_sel:DWORD dst_unused:UNUSED_PAD src0_sel:DWORD src1_sel:WORD_1
	buffer_store_dword v74, off, s[20:23], 0 offset:340 ; 4-byte Folded Spill
	s_waitcnt lgkmcnt(0)
	; wave barrier
	s_waitcnt lgkmcnt(0)
	global_load_dwordx4 v[76:79], v72, s[14:15] offset:192
	s_nop 0
	global_load_dwordx4 v[72:75], v73, s[14:15] offset:192
	v_sub_u16_e32 v81, v116, v81
	v_sub_u16_e32 v80, v249, v80
	v_lshrrev_b16_e32 v165, 4, v88
	v_lshrrev_b16_e32 v93, 1, v93
	v_and_b32_e32 v162, 0xff, v81
	v_and_b32_e32 v164, 0xff, v80
	v_mul_lo_u16_e32 v88, 27, v165
	v_add_u16_sdwa v92, v93, v92 dst_sel:DWORD dst_unused:UNUSED_PAD src0_sel:DWORD src1_sel:WORD_1
	v_lshlrev_b32_e32 v81, 4, v162
	v_lshlrev_b32_e32 v80, 4, v164
	v_sub_u16_e32 v166, v124, v88
	v_lshrrev_b16_e32 v167, 4, v92
	global_load_dwordx4 v[84:87], v81, s[14:15] offset:192
	s_nop 0
	global_load_dwordx4 v[80:83], v80, s[14:15] offset:192
	v_lshlrev_b16_e32 v88, 4, v166
	v_mul_lo_u16_e32 v92, 27, v167
	v_add_co_u32_e32 v88, vcc, s14, v88
	v_sub_u16_e32 v168, v126, v92
	v_addc_co_u32_e32 v89, vcc, 0, v135, vcc
	v_lshlrev_b16_e32 v92, 4, v168
	v_mul_u32_u24_sdwa v96, v134, s0 dst_sel:DWORD dst_unused:UNUSED_PAD src0_sel:WORD_0 src1_sel:DWORD
	global_load_dwordx4 v[88:91], v[88:89], off offset:192
	v_add_co_u32_e32 v92, vcc, s14, v92
	v_sub_u16_sdwa v97, v134, v96 dst_sel:DWORD dst_unused:UNUSED_PAD src0_sel:DWORD src1_sel:WORD_1
	v_addc_co_u32_e32 v93, vcc, 0, v135, vcc
	global_load_dwordx4 v[92:95], v[92:93], off offset:192
	v_lshrrev_b16_e32 v97, 1, v97
	v_add_u16_sdwa v96, v97, v96 dst_sel:DWORD dst_unused:UNUSED_PAD src0_sel:DWORD src1_sel:WORD_1
	v_lshrrev_b16_e32 v117, 4, v96
	v_mul_lo_u16_e32 v96, 27, v117
	v_sub_u16_e32 v118, v134, v96
	v_lshlrev_b16_e32 v96, 4, v118
	v_mul_u32_u24_sdwa v100, v133, s0 dst_sel:DWORD dst_unused:UNUSED_PAD src0_sel:WORD_0 src1_sel:DWORD
	v_add_co_u32_e32 v96, vcc, s14, v96
	v_sub_u16_sdwa v101, v133, v100 dst_sel:DWORD dst_unused:UNUSED_PAD src0_sel:DWORD src1_sel:WORD_1
	v_addc_co_u32_e32 v97, vcc, 0, v135, vcc
	v_lshrrev_b16_e32 v101, 1, v101
	global_load_dwordx4 v[96:99], v[96:97], off offset:192
	v_add_u16_sdwa v100, v101, v100 dst_sel:DWORD dst_unused:UNUSED_PAD src0_sel:DWORD src1_sel:WORD_1
	v_lshrrev_b16_e32 v114, 4, v100
	v_mul_lo_u16_e32 v100, 27, v114
	v_sub_u16_e32 v115, v133, v100
	v_lshlrev_b16_e32 v100, 4, v115
	v_add_co_u32_e32 v100, vcc, s14, v100
	v_addc_co_u32_e32 v101, vcc, 0, v135, vcc
	global_load_dwordx4 v[100:103], v[100:101], off offset:192
	ds_read2_b64 v[104:107], v145 offset0:110 offset1:173
	ds_read2_b64 v[108:111], v144 offset0:118 offset1:181
	;; [unrolled: 1-line block ×5, first 2 shown]
	v_mul_lo_u16_e32 v123, 0x51, v123
	v_and_b32_e32 v123, 0xff, v123
	v_add_lshl_u32 v123, v123, v131, 3
	s_waitcnt vmcnt(7) lgkmcnt(4)
	v_mul_f32_e32 v140, v105, v79
	v_fma_f32 v140, v104, v78, -v140
	v_mul_f32_e32 v141, v104, v79
	s_waitcnt vmcnt(6) lgkmcnt(3)
	v_mul_f32_e32 v104, v109, v73
	v_fma_f32 v169, v108, v72, -v104
	v_mul_f32_e32 v104, v107, v75
	v_fma_f32 v171, v106, v74, -v104
	v_mul_f32_e32 v172, v106, v75
	v_fmac_f32_e32 v141, v105, v78
	v_fmac_f32_e32 v172, v107, v74
	v_mul_f32_e32 v170, v108, v73
	v_fmac_f32_e32 v170, v109, v72
	s_waitcnt vmcnt(5)
	v_mul_f32_e32 v104, v111, v85
	v_fma_f32 v173, v110, v84, -v104
	s_waitcnt lgkmcnt(2)
	v_mul_f32_e32 v104, v120, v87
	v_fma_f32 v175, v119, v86, -v104
	s_waitcnt vmcnt(4) lgkmcnt(1)
	v_mul_f32_e32 v104, v128, v81
	v_fma_f32 v177, v127, v80, -v104
	v_mul_f32_e32 v104, v122, v83
	v_fma_f32 v179, v121, v82, -v104
	v_mul_f32_e32 v176, v119, v87
	v_fmac_f32_e32 v176, v120, v86
	v_mul_f32_e32 v174, v110, v85
	s_waitcnt vmcnt(3)
	v_mul_f32_e32 v104, v130, v89
	v_fma_f32 v181, v129, v88, -v104
	s_waitcnt lgkmcnt(0)
	v_mul_f32_e32 v104, v137, v91
	v_fma_f32 v183, v136, v90, -v104
	v_fmac_f32_e32 v174, v111, v84
	v_mul_f32_e32 v178, v127, v81
	s_waitcnt vmcnt(2)
	v_mul_f32_e32 v104, v139, v95
	v_fma_f32 v185, v138, v94, -v104
	ds_read2_b64 v[104:107], v149 offset0:114 offset1:177
	v_mul_f32_e32 v182, v129, v89
	v_fmac_f32_e32 v178, v128, v80
	v_fmac_f32_e32 v182, v130, v88
	ds_read2_b64 v[127:130], v255 offset1:63
	s_waitcnt lgkmcnt(1)
	v_mul_f32_e32 v108, v105, v93
	v_fma_f32 v187, v104, v92, -v108
	v_mul_f32_e32 v188, v104, v93
	v_fmac_f32_e32 v188, v105, v92
	v_mul_f32_e32 v180, v121, v83
	v_mul_f32_e32 v184, v136, v91
	v_fmac_f32_e32 v180, v122, v82
	s_waitcnt vmcnt(1)
	v_mul_f32_e32 v104, v107, v97
	v_mul_f32_e32 v190, v106, v97
	v_fma_f32 v189, v106, v96, -v104
	v_fmac_f32_e32 v190, v107, v96
	ds_read2_b64 v[104:107], v151 offset0:104 offset1:167
	v_mul_f32_e32 v186, v138, v95
	v_fmac_f32_e32 v184, v137, v90
	v_fmac_f32_e32 v186, v139, v94
	s_waitcnt lgkmcnt(0)
	v_mul_f32_e32 v108, v105, v99
	v_fma_f32 v191, v104, v98, -v108
	v_mul_f32_e32 v192, v104, v99
	s_waitcnt vmcnt(0)
	v_mul_f32_e32 v104, v107, v103
	v_fma_f32 v193, v106, v102, -v104
	v_mul_u32_u24_sdwa v104, v132, s0 dst_sel:DWORD dst_unused:UNUSED_PAD src0_sel:WORD_0 src1_sel:DWORD
	v_fmac_f32_e32 v192, v105, v98
	v_sub_u16_sdwa v105, v132, v104 dst_sel:DWORD dst_unused:UNUSED_PAD src0_sel:DWORD src1_sel:WORD_1
	v_mul_f32_e32 v194, v106, v103
	v_lshrrev_b16_e32 v105, 1, v105
	v_fmac_f32_e32 v194, v107, v102
	v_add_u16_sdwa v104, v105, v104 dst_sel:DWORD dst_unused:UNUSED_PAD src0_sel:DWORD src1_sel:WORD_1
	ds_read2_b64 v[106:109], v146 offset0:112 offset1:175
	v_lshrrev_b16_e32 v119, 4, v104
	v_mul_lo_u16_e32 v104, 27, v119
	v_sub_u16_e32 v120, v132, v104
	v_lshlrev_b16_e32 v104, 4, v120
	s_waitcnt lgkmcnt(0)
	v_mul_f32_e32 v105, v107, v101
	v_add_co_u32_e32 v104, vcc, s14, v104
	v_fma_f32 v195, v106, v100, -v105
	v_mul_f32_e32 v196, v106, v101
	v_addc_co_u32_e32 v105, vcc, 0, v135, vcc
	v_fmac_f32_e32 v196, v107, v100
	global_load_dwordx4 v[104:107], v[104:105], off offset:192
	s_movk_i32 s0, 0x51
	v_mad_legacy_u16 v117, v117, s0, v118
	v_lshlrev_b32_e32 v117, 3, v117
	s_waitcnt vmcnt(0)
	v_mul_f32_e32 v110, v109, v105
	v_mul_f32_e32 v198, v108, v105
	v_fma_f32 v197, v108, v104, -v110
	v_fmac_f32_e32 v198, v109, v104
	ds_read2_b64 v[108:111], v147 offset0:120 offset1:183
	s_waitcnt lgkmcnt(0)
	v_mul_f32_e32 v121, v111, v77
	v_fma_f32 v136, v110, v76, -v121
	v_mul_f32_e32 v121, v110, v77
	v_fmac_f32_e32 v121, v111, v76
	v_add_f32_e32 v111, v128, v121
	v_sub_f32_e32 v199, v121, v141
	v_add_f32_e32 v122, v121, v141
	v_add_f32_e32 v121, v136, v140
	v_fma_f32 v121, -0.5, v121, v127
	v_fma_f32 v122, -0.5, v122, v128
	v_add_f32_e32 v110, v127, v136
	v_sub_f32_e32 v200, v136, v140
	v_mov_b32_e32 v127, v121
	v_mov_b32_e32 v128, v122
	v_add_f32_e32 v110, v110, v140
	v_add_f32_e32 v111, v111, v141
	v_fmac_f32_e32 v127, 0x3f5db3d7, v199
	v_fmac_f32_e32 v128, 0xbf5db3d7, v200
	v_fmac_f32_e32 v121, 0xbf5db3d7, v199
	v_fmac_f32_e32 v122, 0x3f5db3d7, v200
	ds_read_b64 v[157:158], v255 offset:13104
	ds_read2_b64 v[136:139], v255 offset0:126 offset1:189
	ds_read2_b64 v[140:143], v150 offset0:124 offset1:187
	;; [unrolled: 1-line block ×3, first 2 shown]
	s_waitcnt lgkmcnt(0)
	; wave barrier
	s_waitcnt lgkmcnt(0)
	ds_write2_b64 v123, v[110:111], v[127:128] offset1:27
	ds_write_b64 v123, v[121:122] offset:432
	v_add_f32_e32 v111, v169, v171
	v_add_f32_e32 v121, v170, v172
	;; [unrolled: 1-line block ×3, first 2 shown]
	v_fma_f32 v129, -0.5, v111, v129
	v_add_f32_e32 v111, v130, v170
	v_fmac_f32_e32 v130, -0.5, v121
	v_mul_u32_u24_e32 v121, 0x51, v159
	buffer_store_dword v123, off, s[20:23], 0 offset:344 ; 4-byte Folded Spill
	v_sub_f32_e32 v123, v170, v172
	v_sub_f32_e32 v127, v169, v171
	v_add_lshl_u32 v128, v121, v160, 3
	v_mov_b32_e32 v121, v129
	v_mov_b32_e32 v122, v130
	v_add_f32_e32 v110, v110, v171
	v_add_f32_e32 v111, v111, v172
	v_fmac_f32_e32 v121, 0x3f5db3d7, v123
	v_fmac_f32_e32 v122, 0xbf5db3d7, v127
	ds_write2_b64 v128, v[110:111], v[121:122] offset1:27
	v_add_f32_e32 v122, v174, v176
	v_add_f32_e32 v121, v173, v175
	v_fmac_f32_e32 v129, 0xbf5db3d7, v123
	v_fmac_f32_e32 v130, 0x3f5db3d7, v127
	v_fma_f32 v121, -0.5, v121, v136
	v_fma_f32 v122, -0.5, v122, v137
	v_mul_u32_u24_e32 v127, 0x51, v161
	buffer_store_dword v128, off, s[20:23], 0 offset:348 ; 4-byte Folded Spill
	ds_write_b64 v128, v[129:130] offset:432
	v_add_f32_e32 v110, v136, v173
	v_add_f32_e32 v111, v137, v174
	v_sub_f32_e32 v123, v174, v176
	v_sub_f32_e32 v129, v173, v175
	v_add_lshl_u32 v130, v127, v162, 3
	v_mov_b32_e32 v127, v121
	v_mov_b32_e32 v128, v122
	v_add_f32_e32 v110, v110, v175
	v_add_f32_e32 v111, v111, v176
	v_fmac_f32_e32 v127, 0x3f5db3d7, v123
	v_fmac_f32_e32 v128, 0xbf5db3d7, v129
	;; [unrolled: 1-line block ×4, first 2 shown]
	ds_write2_b64 v130, v[110:111], v[127:128] offset1:27
	ds_write_b64 v130, v[121:122] offset:432
	v_add_f32_e32 v111, v177, v179
	v_add_f32_e32 v121, v178, v180
	;; [unrolled: 1-line block ×3, first 2 shown]
	v_fma_f32 v138, -0.5, v111, v138
	v_add_f32_e32 v111, v139, v178
	v_fmac_f32_e32 v139, -0.5, v121
	v_mul_u32_u24_e32 v121, 0x51, v163
	v_sub_f32_e32 v123, v178, v180
	v_sub_f32_e32 v127, v177, v179
	v_add_lshl_u32 v128, v121, v164, 3
	v_mov_b32_e32 v121, v138
	v_mov_b32_e32 v122, v139
	v_add_f32_e32 v110, v110, v179
	v_add_f32_e32 v111, v111, v180
	v_fmac_f32_e32 v121, 0x3f5db3d7, v123
	v_fmac_f32_e32 v122, 0xbf5db3d7, v127
	ds_write2_b64 v128, v[110:111], v[121:122] offset1:27
	v_add_f32_e32 v122, v182, v184
	v_add_f32_e32 v121, v181, v183
	v_fmac_f32_e32 v138, 0xbf5db3d7, v123
	v_fmac_f32_e32 v139, 0x3f5db3d7, v127
	v_fma_f32 v121, -0.5, v121, v140
	v_fma_f32 v122, -0.5, v122, v141
	buffer_store_dword v130, off, s[20:23], 0 offset:352 ; 4-byte Folded Spill
	buffer_store_dword v128, off, s[20:23], 0 offset:356 ; 4-byte Folded Spill
	ds_write_b64 v128, v[138:139] offset:432
	v_add_f32_e32 v110, v140, v181
	v_add_f32_e32 v111, v141, v182
	v_sub_f32_e32 v123, v182, v184
	v_sub_f32_e32 v129, v181, v183
	v_mad_legacy_u16 v130, v165, s0, v166
	v_mov_b32_e32 v127, v121
	v_mov_b32_e32 v128, v122
	v_add_f32_e32 v110, v110, v183
	v_add_f32_e32 v111, v111, v184
	v_fmac_f32_e32 v127, 0x3f5db3d7, v123
	v_fmac_f32_e32 v128, 0xbf5db3d7, v129
	v_lshlrev_b32_e32 v130, 3, v130
	v_fmac_f32_e32 v121, 0xbf5db3d7, v123
	v_fmac_f32_e32 v122, 0x3f5db3d7, v129
	ds_write2_b64 v130, v[110:111], v[127:128] offset1:27
	ds_write_b64 v130, v[121:122] offset:432
	v_add_f32_e32 v111, v187, v185
	v_add_f32_e32 v121, v188, v186
	;; [unrolled: 1-line block ×3, first 2 shown]
	v_fma_f32 v142, -0.5, v111, v142
	v_add_f32_e32 v111, v143, v188
	v_fmac_f32_e32 v143, -0.5, v121
	v_sub_f32_e32 v123, v188, v186
	v_sub_f32_e32 v127, v187, v185
	v_mad_legacy_u16 v128, v167, s0, v168
	v_mov_b32_e32 v121, v142
	v_mov_b32_e32 v122, v143
	v_add_f32_e32 v110, v110, v185
	v_add_f32_e32 v111, v111, v186
	v_fmac_f32_e32 v121, 0x3f5db3d7, v123
	v_fmac_f32_e32 v122, 0xbf5db3d7, v127
	v_lshlrev_b32_e32 v159, 3, v128
	ds_write2_b64 v159, v[110:111], v[121:122] offset1:27
	v_mul_f32_e32 v110, v158, v107
	v_fma_f32 v131, v157, v106, -v110
	v_add_f32_e32 v110, v189, v191
	v_fma_f32 v110, -0.5, v110, v152
	v_sub_f32_e32 v111, v190, v192
	v_mov_b32_e32 v121, v110
	v_fmac_f32_e32 v121, 0x3f5db3d7, v111
	v_fmac_f32_e32 v110, 0xbf5db3d7, v111
	v_add_f32_e32 v111, v152, v189
	v_fmac_f32_e32 v143, 0x3f5db3d7, v127
	v_add_f32_e32 v127, v111, v191
	v_add_f32_e32 v111, v153, v190
	;; [unrolled: 1-line block ×4, first 2 shown]
	v_fma_f32 v111, -0.5, v111, v153
	v_fmac_f32_e32 v142, 0xbf5db3d7, v123
	v_sub_f32_e32 v123, v189, v191
	v_mov_b32_e32 v122, v111
	v_fmac_f32_e32 v122, 0xbf5db3d7, v123
	v_fmac_f32_e32 v111, 0x3f5db3d7, v123
	v_add_f32_e32 v123, v154, v195
	v_add_f32_e32 v129, v195, v193
	;; [unrolled: 1-line block ×4, first 2 shown]
	v_fma_f32 v154, -0.5, v129, v154
	v_add_f32_e32 v137, v123, v194
	v_add_f32_e32 v123, v196, v194
	buffer_store_dword v130, off, s[20:23], 0 offset:360 ; 4-byte Folded Spill
	v_sub_f32_e32 v130, v196, v194
	v_mov_b32_e32 v129, v154
	v_fmac_f32_e32 v155, -0.5, v123
	v_fmac_f32_e32 v129, 0x3f5db3d7, v130
	v_fmac_f32_e32 v154, 0xbf5db3d7, v130
	v_sub_f32_e32 v123, v195, v193
	v_mov_b32_e32 v130, v155
	ds_write_b64 v159, v[142:143] offset:432
	ds_write_b64 v117, v[110:111] offset:432
	v_mad_legacy_u16 v110, v114, s0, v115
	v_mul_f32_e32 v139, v157, v107
	v_fmac_f32_e32 v130, 0xbf5db3d7, v123
	v_fmac_f32_e32 v155, 0x3f5db3d7, v123
	v_add_f32_e32 v138, v197, v131
	v_lshlrev_b32_e32 v110, 3, v110
	v_fmac_f32_e32 v139, v158, v106
	v_add_f32_e32 v123, v108, v197
	v_fma_f32 v108, -0.5, v138, v108
	ds_write2_b64 v117, v[127:128], v[121:122] offset1:27
	ds_write2_b64 v110, v[136:137], v[129:130] offset1:27
	buffer_store_dword v110, off, s[20:23], 0 offset:372 ; 4-byte Folded Spill
	ds_write_b64 v110, v[154:155] offset:432
	v_mad_legacy_u16 v110, v119, s0, v120
	s_movk_i32 s0, 0xffee
	v_sub_f32_e32 v140, v198, v139
	v_mov_b32_e32 v138, v108
	v_add_co_u32_e32 v114, vcc, s0, v240
	v_fmac_f32_e32 v138, 0x3f5db3d7, v140
	v_fmac_f32_e32 v108, 0xbf5db3d7, v140
	v_add_f32_e32 v140, v123, v131
	v_add_f32_e32 v123, v109, v198
	v_addc_co_u32_e64 v115, s[0:1], 0, -1, vcc
	v_cmp_gt_u16_e32 vcc, 18, v240
	v_add_f32_e32 v141, v123, v139
	v_add_f32_e32 v123, v198, v139
	v_cndmask_b32_e32 v178, v115, v113, vcc
	v_cndmask_b32_e32 v177, v114, v112, vcc
	v_fmac_f32_e32 v109, -0.5, v123
	v_sub_f32_e32 v123, v197, v131
	v_lshlrev_b64 v[112:113], 4, v[177:178]
	v_mov_b32_e32 v139, v109
	v_fmac_f32_e32 v109, 0x3f5db3d7, v123
	v_lshlrev_b32_e32 v110, 3, v110
	v_fmac_f32_e32 v139, 0xbf5db3d7, v123
	ds_write_b64 v110, v[108:109] offset:432
	v_lshlrev_b32_e32 v108, 4, v240
	v_add_co_u32_e32 v112, vcc, s14, v112
	buffer_store_dword v159, off, s[20:23], 0 offset:364 ; 4-byte Folded Spill
	buffer_store_dword v117, off, s[20:23], 0 offset:368 ; 4-byte Folded Spill
	ds_write2_b64 v110, v[140:141], v[138:139] offset1:27
	buffer_store_dword v110, off, s[20:23], 0 offset:376 ; 4-byte Folded Spill
	s_waitcnt lgkmcnt(0)
	; wave barrier
	s_waitcnt lgkmcnt(0)
	global_load_dwordx4 v[108:111], v108, s[14:15] offset:624
	v_addc_co_u32_e32 v113, vcc, v135, v113, vcc
	global_load_dwordx4 v[112:115], v[112:113], off offset:624
	s_movk_i32 s0, 0xcb
	v_mul_lo_u16_sdwa v117, v116, s0 dst_sel:DWORD dst_unused:UNUSED_PAD src0_sel:BYTE_0 src1_sel:DWORD
	v_lshrrev_b16_e32 v186, 14, v117
	v_mul_lo_u16_e32 v117, 0x51, v186
	v_sub_u16_e32 v116, v116, v117
	v_and_b32_e32 v187, 0xff, v116
	v_lshlrev_b32_e32 v116, 4, v187
	global_load_dwordx4 v[120:123], v116, s[14:15] offset:624
	v_mul_lo_u16_sdwa v116, v249, s0 dst_sel:DWORD dst_unused:UNUSED_PAD src0_sel:BYTE_0 src1_sel:DWORD
	v_lshrrev_b16_e32 v188, 14, v116
	v_mul_lo_u16_e32 v116, 0x51, v188
	v_sub_u16_e32 v116, v249, v116
	v_and_b32_e32 v189, 0xff, v116
	v_lshlrev_b32_e32 v116, 4, v189
	global_load_dwordx4 v[116:119], v116, s[14:15] offset:624
	ds_read2_b64 v[127:130], v145 offset0:110 offset1:173
	s_movk_i32 s0, 0x6523
	ds_read2_b64 v[136:139], v125 offset0:116 offset1:179
	s_waitcnt vmcnt(3) lgkmcnt(1)
	v_mul_f32_e32 v131, v128, v111
	v_fma_f32 v140, v127, v110, -v131
	v_mul_f32_e32 v141, v127, v111
	s_waitcnt vmcnt(2)
	v_mul_f32_e32 v127, v130, v115
	v_mul_f32_e32 v191, v129, v115
	v_fmac_f32_e32 v141, v128, v110
	v_fma_f32 v190, v129, v114, -v127
	v_fmac_f32_e32 v191, v130, v114
	ds_read2_b64 v[127:130], v144 offset0:118 offset1:181
	s_waitcnt lgkmcnt(0)
	v_mul_f32_e32 v131, v128, v113
	v_fma_f32 v198, v127, v112, -v131
	v_mul_f32_e32 v199, v127, v113
	s_waitcnt vmcnt(1)
	v_mul_f32_e32 v127, v130, v121
	v_mul_f32_e32 v201, v129, v121
	v_fmac_f32_e32 v199, v128, v112
	v_fma_f32 v200, v129, v120, -v127
	v_fmac_f32_e32 v201, v130, v120
	ds_read2_b64 v[127:130], v156 offset0:108 offset1:171
	s_waitcnt vmcnt(0)
	v_mul_f32_e32 v210, v136, v117
	v_fmac_f32_e32 v210, v137, v116
	s_waitcnt lgkmcnt(0)
	v_mul_f32_e32 v131, v128, v123
	v_fma_f32 v202, v127, v122, -v131
	v_mul_f32_e32 v203, v127, v123
	v_mul_f32_e32 v127, v130, v119
	v_fma_f32 v204, v129, v118, -v127
	v_mul_u32_u24_sdwa v127, v124, s0 dst_sel:DWORD dst_unused:UNUSED_PAD src0_sel:WORD_0 src1_sel:DWORD
	v_lshrrev_b32_e32 v127, 21, v127
	v_mul_lo_u16_e32 v127, 0x51, v127
	v_sub_u16_e32 v206, v124, v127
	v_mul_u32_u24_sdwa v124, v126, s0 dst_sel:DWORD dst_unused:UNUSED_PAD src0_sel:WORD_0 src1_sel:DWORD
	v_lshrrev_b32_e32 v207, 21, v124
	v_mul_lo_u16_e32 v124, 0x51, v207
	v_sub_u16_e32 v208, v126, v124
	v_mul_f32_e32 v124, v137, v117
	v_fma_f32 v209, v136, v116, -v124
	v_lshlrev_b16_e32 v124, 4, v206
	v_add_co_u32_e32 v124, vcc, s14, v124
	v_addc_co_u32_e32 v125, vcc, 0, v135, vcc
	v_lshlrev_b16_e32 v126, 4, v208
	v_add_co_u32_e32 v126, vcc, s14, v126
	v_mul_f32_e32 v205, v129, v119
	v_addc_co_u32_e32 v127, vcc, 0, v135, vcc
	v_fmac_f32_e32 v203, v128, v122
	v_fmac_f32_e32 v205, v130, v118
	global_load_dwordx4 v[128:131], v[124:125], off offset:624
	s_nop 0
	global_load_dwordx4 v[124:127], v[126:127], off offset:624
	ds_read2_b64 v[192:195], v147 offset0:120 offset1:183
	ds_read2_b64 v[152:155], v255 offset1:63
	ds_read_b64 v[184:185], v255 offset:13104
	s_waitcnt vmcnt(1)
	v_mul_f32_e32 v136, v139, v129
	v_fma_f32 v211, v138, v128, -v136
	v_mul_u32_u24_sdwa v136, v134, s0 dst_sel:DWORD dst_unused:UNUSED_PAD src0_sel:WORD_0 src1_sel:DWORD
	v_lshrrev_b32_e32 v213, 21, v136
	v_mul_lo_u16_e32 v136, 0x51, v213
	v_sub_u16_e32 v214, v134, v136
	v_mul_u32_u24_sdwa v134, v133, s0 dst_sel:DWORD dst_unused:UNUSED_PAD src0_sel:WORD_0 src1_sel:DWORD
	v_lshrrev_b32_e32 v215, 21, v134
	v_mul_lo_u16_e32 v134, 0x51, v215
	v_sub_u16_e32 v216, v133, v134
	;; [unrolled: 4-line block ×3, first 2 shown]
	v_lshlrev_b16_e32 v132, 4, v214
	v_add_co_u32_e32 v132, vcc, s14, v132
	v_mul_f32_e32 v212, v138, v129
	v_addc_co_u32_e32 v133, vcc, 0, v135, vcc
	v_lshlrev_b16_e32 v134, 4, v216
	s_waitcnt lgkmcnt(2)
	v_mul_f32_e32 v138, v195, v109
	v_fmac_f32_e32 v212, v139, v128
	v_add_co_u32_e32 v136, vcc, s14, v134
	v_fma_f32 v138, v194, v108, -v138
	v_mul_f32_e32 v139, v194, v109
	v_addc_co_u32_e32 v137, vcc, 0, v135, vcc
	v_lshlrev_b16_e32 v134, 4, v217
	v_fmac_f32_e32 v139, v195, v108
	s_waitcnt lgkmcnt(1)
	v_add_f32_e32 v142, v152, v138
	v_add_co_u32_e32 v134, vcc, s14, v134
	v_add_f32_e32 v178, v142, v140
	v_add_f32_e32 v142, v153, v139
	v_addc_co_u32_e32 v135, vcc, 0, v135, vcc
	v_add_f32_e32 v179, v142, v141
	v_sub_f32_e32 v218, v139, v141
	v_add_f32_e32 v139, v139, v141
	v_add_f32_e32 v141, v138, v140
	v_fma_f32 v180, -0.5, v141, v152
	v_fma_f32 v181, -0.5, v139, v153
	v_sub_f32_e32 v219, v138, v140
	global_load_dwordx4 v[140:143], v[132:133], off offset:624
	s_nop 0
	global_load_dwordx4 v[136:139], v[136:137], off offset:624
	s_nop 0
	global_load_dwordx4 v[132:135], v[134:135], off offset:624
	v_mov_b32_e32 v182, v180
	v_mov_b32_e32 v183, v181
	v_fmac_f32_e32 v182, 0x3f5db3d7, v218
	v_fmac_f32_e32 v183, 0xbf5db3d7, v219
	ds_read2_b64 v[157:160], v150 offset0:124 offset1:187
	ds_read2_b64 v[150:153], v151 offset0:104 offset1:167
	ds_read2_b64 v[161:164], v255 offset0:126 offset1:189
	ds_read2_b64 v[165:168], v148 offset0:106 offset1:169
	ds_read2_b64 v[169:172], v149 offset0:114 offset1:177
	ds_read2_b64 v[194:197], v220 offset0:122 offset1:185
	ds_read2_b64 v[173:176], v146 offset0:112 offset1:175
	s_waitcnt lgkmcnt(0)
	; wave barrier
	s_waitcnt lgkmcnt(0)
	ds_write2_b64 v255, v[178:179], v[182:183] offset1:81
	v_mov_b32_e32 v178, 0xf3
	v_cmp_lt_u16_e32 vcc, 17, v240
	v_cndmask_b32_e32 v178, 0, v178, vcc
	v_add_lshl_u32 v183, v177, v178, 3
	v_add_f32_e32 v178, v198, v190
	v_add_f32_e32 v179, v199, v191
	v_fmac_f32_e32 v180, 0xbf5db3d7, v218
	v_fmac_f32_e32 v181, 0x3f5db3d7, v219
	v_add_f32_e32 v177, v154, v198
	v_fma_f32 v154, -0.5, v178, v154
	v_add_f32_e32 v178, v155, v199
	v_fmac_f32_e32 v155, -0.5, v179
	ds_write_b64 v255, v[180:181] offset:1296
	v_sub_f32_e32 v181, v199, v191
	v_sub_f32_e32 v182, v198, v190
	v_mov_b32_e32 v179, v154
	v_mov_b32_e32 v180, v155
	v_add_f32_e32 v177, v177, v190
	v_add_f32_e32 v178, v178, v191
	v_fmac_f32_e32 v179, 0x3f5db3d7, v181
	v_fmac_f32_e32 v180, 0xbf5db3d7, v182
	ds_write2_b64 v183, v[177:178], v[179:180] offset1:81
	v_fmac_f32_e32 v154, 0xbf5db3d7, v181
	v_fmac_f32_e32 v155, 0x3f5db3d7, v182
	v_add_f32_e32 v177, v201, v203
	v_add_f32_e32 v178, v200, v202
	ds_write_b64 v183, v[154:155] offset:1296
	v_add_f32_e32 v154, v161, v200
	v_add_f32_e32 v155, v162, v201
	v_fma_f32 v161, -0.5, v178, v161
	v_fma_f32 v162, -0.5, v177, v162
	v_mul_u32_u24_e32 v177, 0xf3, v186
	v_sub_f32_e32 v179, v201, v203
	v_sub_f32_e32 v180, v200, v202
	v_add_lshl_u32 v181, v177, v187, 3
	v_mov_b32_e32 v177, v161
	v_mov_b32_e32 v178, v162
	v_add_f32_e32 v154, v154, v202
	v_add_f32_e32 v155, v155, v203
	v_fmac_f32_e32 v177, 0x3f5db3d7, v179
	v_fmac_f32_e32 v178, 0xbf5db3d7, v180
	;; [unrolled: 1-line block ×4, first 2 shown]
	ds_write2_b64 v181, v[154:155], v[177:178] offset1:81
	ds_write_b64 v181, v[161:162] offset:1296
	v_add_f32_e32 v155, v209, v204
	v_add_f32_e32 v161, v210, v205
	;; [unrolled: 1-line block ×3, first 2 shown]
	v_fma_f32 v163, -0.5, v155, v163
	v_add_f32_e32 v155, v164, v210
	v_fmac_f32_e32 v164, -0.5, v161
	v_mul_u32_u24_e32 v161, 0xf3, v188
	v_sub_f32_e32 v177, v210, v205
	v_sub_f32_e32 v178, v209, v204
	v_add_lshl_u32 v0, v161, v189, 3
	v_mov_b32_e32 v161, v163
	v_mov_b32_e32 v162, v164
	v_add_f32_e32 v154, v154, v204
	v_add_f32_e32 v155, v155, v205
	v_fmac_f32_e32 v161, 0x3f5db3d7, v177
	v_fmac_f32_e32 v162, 0xbf5db3d7, v178
	ds_write2_b64 v0, v[154:155], v[161:162] offset1:81
	v_mul_f32_e32 v154, v166, v131
	v_mul_f32_e32 v162, v165, v131
	v_fmac_f32_e32 v163, 0xbf5db3d7, v177
	v_fmac_f32_e32 v164, 0x3f5db3d7, v178
	v_fma_f32 v161, v165, v130, -v154
	v_fmac_f32_e32 v162, v166, v130
	v_add_f32_e32 v155, v158, v212
	ds_write_b64 v0, v[163:164] offset:1296
	v_add_f32_e32 v155, v155, v162
	v_sub_f32_e32 v163, v212, v162
	v_add_f32_e32 v162, v212, v162
	v_add_f32_e32 v164, v211, v161
	;; [unrolled: 1-line block ×3, first 2 shown]
	v_fma_f32 v157, -0.5, v164, v157
	v_fma_f32 v158, -0.5, v162, v158
	buffer_store_dword v0, off, s[20:23], 0 offset:420 ; 4-byte Folded Spill
	v_add_f32_e32 v154, v154, v161
	v_sub_f32_e32 v164, v211, v161
	v_mov_b32_e32 v161, v157
	v_mov_b32_e32 v162, v158
	v_lshlrev_b32_e32 v0, 3, v206
	v_fmac_f32_e32 v161, 0x3f5db3d7, v163
	v_fmac_f32_e32 v162, 0xbf5db3d7, v164
	v_add_u32_e32 v165, 0x1400, v0
	ds_write2_b64 v165, v[154:155], v[161:162] offset0:89 offset1:170
	s_waitcnt vmcnt(4)
	v_mul_f32_e32 v154, v168, v127
	v_fma_f32 v154, v167, v126, -v154
	v_mul_f32_e32 v155, v167, v127
	s_waitcnt vmcnt(3)
	v_mul_f32_e32 v167, v151, v143
	v_fmac_f32_e32 v155, v168, v126
	v_mul_f32_e32 v161, v170, v125
	v_mul_f32_e32 v162, v169, v125
	v_fma_f32 v167, v150, v142, -v167
	v_mul_f32_e32 v168, v150, v143
	s_waitcnt vmcnt(2)
	v_mul_f32_e32 v150, v153, v139
	v_fma_f32 v161, v169, v124, -v161
	v_fmac_f32_e32 v162, v170, v124
	v_mul_f32_e32 v165, v172, v141
	v_fma_f32 v169, v152, v138, -v150
	v_mul_f32_e32 v150, v174, v137
	v_fma_f32 v165, v171, v140, -v165
	v_mul_f32_e32 v166, v171, v141
	v_fmac_f32_e32 v168, v151, v142
	v_mul_f32_e32 v170, v152, v139
	v_fma_f32 v171, v173, v136, -v150
	s_waitcnt vmcnt(1)
	v_mul_f32_e32 v150, v176, v133
	v_add_f32_e32 v151, v161, v154
	v_add_f32_e32 v152, v162, v155
	v_fmac_f32_e32 v166, v172, v140
	v_mul_f32_e32 v172, v173, v137
	v_fma_f32 v173, v175, v132, -v150
	v_fmac_f32_e32 v157, 0xbf5db3d7, v163
	v_fmac_f32_e32 v158, 0x3f5db3d7, v164
	v_add_f32_e32 v150, v159, v161
	v_fma_f32 v159, -0.5, v151, v159
	v_add_f32_e32 v151, v160, v162
	v_fmac_f32_e32 v160, -0.5, v152
	s_movk_i32 s0, 0xf3
	v_fmac_f32_e32 v170, v153, v138
	ds_write_b64 v0, v[157:158] offset:7128
	v_add_f32_e32 v150, v150, v154
	v_add_f32_e32 v151, v151, v155
	v_sub_f32_e32 v157, v162, v155
	v_sub_f32_e32 v154, v161, v154
	v_mad_legacy_u16 v155, v207, s0, v208
	v_mov_b32_e32 v152, v159
	v_mov_b32_e32 v153, v160
	buffer_store_dword v0, off, s[20:23], 0 offset:424 ; 4-byte Folded Spill
	v_fmac_f32_e32 v152, 0x3f5db3d7, v157
	v_fmac_f32_e32 v153, 0xbf5db3d7, v154
	v_lshlrev_b32_e32 v0, 3, v155
	ds_write2_b64 v0, v[150:151], v[152:153] offset1:81
	v_fmac_f32_e32 v159, 0xbf5db3d7, v157
	v_fmac_f32_e32 v160, 0x3f5db3d7, v154
	v_add_f32_e32 v153, v166, v168
	v_add_f32_e32 v152, v165, v167
	ds_write_b64 v0, v[159:160] offset:1296
	v_sub_f32_e32 v157, v166, v168
	v_fma_f32 v152, -0.5, v152, v194
	v_fma_f32 v153, -0.5, v153, v195
	v_sub_f32_e32 v158, v165, v167
	v_mad_legacy_u16 v159, v213, s0, v214
	buffer_store_dword v0, off, s[20:23], 0 offset:428 ; 4-byte Folded Spill
	v_mov_b32_e32 v154, v152
	v_mov_b32_e32 v155, v153
	v_lshlrev_b32_e32 v0, 3, v159
	v_fmac_f32_e32 v152, 0xbf5db3d7, v157
	v_fmac_f32_e32 v153, 0x3f5db3d7, v158
	ds_write_b64 v0, v[152:153] offset:1296
	v_add_f32_e32 v153, v171, v169
	v_fmac_f32_e32 v172, v174, v136
	v_add_f32_e32 v152, v196, v171
	v_fma_f32 v196, -0.5, v153, v196
	v_add_f32_e32 v150, v194, v165
	v_add_f32_e32 v151, v195, v166
	;; [unrolled: 1-line block ×3, first 2 shown]
	v_mov_b32_e32 v200, v196
	v_sub_f32_e32 v152, v172, v170
	v_add_f32_e32 v150, v150, v167
	v_add_f32_e32 v151, v151, v168
	v_fmac_f32_e32 v154, 0x3f5db3d7, v157
	v_fmac_f32_e32 v155, 0xbf5db3d7, v158
	;; [unrolled: 1-line block ×4, first 2 shown]
	v_add_f32_e32 v152, v197, v172
	ds_write2_b64 v0, v[150:151], v[154:155] offset1:81
	v_mul_f32_e32 v150, v185, v135
	v_add_f32_e32 v199, v152, v170
	v_add_f32_e32 v152, v172, v170
	v_fma_f32 v150, v184, v134, -v150
	v_fmac_f32_e32 v197, -0.5, v152
	v_mul_f32_e32 v174, v175, v133
	v_mul_f32_e32 v151, v184, v135
	v_sub_f32_e32 v152, v171, v169
	v_mov_b32_e32 v201, v197
	v_add_f32_e32 v153, v173, v150
	v_fmac_f32_e32 v174, v176, v132
	v_fmac_f32_e32 v151, v185, v134
	;; [unrolled: 1-line block ×4, first 2 shown]
	v_add_f32_e32 v152, v192, v173
	v_fma_f32 v192, -0.5, v153, v192
	v_sub_f32_e32 v153, v174, v151
	v_mov_b32_e32 v194, v192
	v_fmac_f32_e32 v194, 0x3f5db3d7, v153
	v_fmac_f32_e32 v192, 0xbf5db3d7, v153
	v_add_f32_e32 v153, v193, v174
	v_add_f32_e32 v213, v153, v151
	;; [unrolled: 1-line block ×3, first 2 shown]
	v_fmac_f32_e32 v193, -0.5, v151
	v_add_f32_e32 v212, v152, v150
	v_sub_f32_e32 v150, v173, v150
	v_mov_b32_e32 v195, v193
	v_fmac_f32_e32 v195, 0xbf5db3d7, v150
	v_fmac_f32_e32 v193, 0x3f5db3d7, v150
	v_mad_legacy_u16 v150, v215, s0, v216
	buffer_store_dword v0, off, s[20:23], 0 offset:432 ; 4-byte Folded Spill
	v_lshlrev_b32_e32 v0, 3, v150
	ds_write2_b64 v0, v[198:199], v[200:201] offset1:81
	buffer_store_dword v0, off, s[20:23], 0 offset:436 ; 4-byte Folded Spill
	ds_write_b64 v0, v[196:197] offset:1296
	v_lshlrev_b32_e32 v0, 3, v217
	v_add_u32_e32 v150, 0x2c00, v0
	buffer_store_dword v183, off, s[20:23], 0 offset:380 ; 4-byte Folded Spill
	buffer_store_dword v181, off, s[20:23], 0 offset:384 ; 4-byte Folded Spill
	ds_write2_b64 v150, v[212:213], v[194:195] offset0:50 offset1:131
	buffer_store_dword v0, off, s[20:23], 0 offset:440 ; 4-byte Folded Spill
	ds_write_b64 v0, v[192:193] offset:12960
	s_waitcnt lgkmcnt(0)
	; wave barrier
	s_waitcnt lgkmcnt(0)
	ds_read_b64 v[246:247], v255 offset:12672
                                        ; implicit-def: $vgpr244
	ds_read2_b64 v[186:189], v147 offset0:102 offset1:165
	ds_read2_b64 v[152:155], v144 offset0:100 offset1:217
	;; [unrolled: 1-line block ×6, first 2 shown]
	ds_read2_b64 v[206:209], v255 offset1:63
	ds_read2_b64 v[202:205], v255 offset0:126 offset1:243
	ds_read2_b64 v[218:221], v220 offset0:50 offset1:113
	;; [unrolled: 1-line block ×3, first 2 shown]
	v_cmp_gt_u16_e64 s[0:1], 54, v240
	s_and_saveexec_b64 s[2:3], s[0:1]
	s_cbranch_execz .LBB0_3
; %bb.2:
	ds_read2_b64 v[194:197], v156 offset0:9 offset1:252
	v_add_u32_e32 v156, 0x1500, v255
	v_add_u32_e32 v157, 0x5c0, v255
	ds_read2_b64 v[210:213], v156 offset0:3 offset1:246
	ds_read2_b64 v[198:201], v157 offset0:5 offset1:248
	ds_read_b64 v[244:245], v255 offset:13176
	s_waitcnt lgkmcnt(3)
	v_mov_b32_e32 v192, v196
	v_mov_b32_e32 v193, v197
	s_waitcnt lgkmcnt(2)
	v_mov_b32_e32 v196, v210
	v_mov_b32_e32 v197, v211
.LBB0_3:
	s_or_b64 exec, exec, s[2:3]
	v_mad_u64_u32 v[190:191], s[2:3], v240, 48, s[14:15]
	s_movk_i32 s2, 0x1350
	s_mov_b32 s7, 0x3f3bfb3b
	global_load_dwordx4 v[156:159], v[190:191], off offset:1952
	global_load_dwordx4 v[160:163], v[190:191], off offset:1936
	;; [unrolled: 1-line block ×3, first 2 shown]
	s_waitcnt vmcnt(2) lgkmcnt(6)
	v_mul_f32_e32 v227, v146, v157
	s_waitcnt vmcnt(1)
	v_mul_f32_e32 v223, v154, v161
	s_waitcnt vmcnt(0) lgkmcnt(2)
	v_mul_f32_e32 v168, v205, v165
	v_fma_f32 v237, v204, v164, -v168
	v_mul_f32_e32 v168, v187, v167
	v_fma_f32 v236, v186, v166, -v168
	;; [unrolled: 2-line block ×6, first 2 shown]
	v_add_co_u32_e32 v146, vcc, s2, v190
	v_fmac_f32_e32 v227, v147, v156
	v_addc_co_u32_e32 v147, vcc, 0, v191, vcc
	v_add_co_u32_e32 v154, vcc, s6, v190
	v_fmac_f32_e32 v223, v155, v160
	v_mul_f32_e32 v229, v178, v159
	v_addc_co_u32_e32 v155, vcc, 0, v191, vcc
	v_fmac_f32_e32 v229, v179, v158
	global_load_dwordx4 v[176:179], v[154:155], off offset:848
	global_load_dwordx4 v[168:171], v[146:147], off offset:32
	;; [unrolled: 1-line block ×3, first 2 shown]
	s_movk_i32 s2, 0x1f20
	v_mul_f32_e32 v211, v186, v167
	v_mul_f32_e32 v225, v182, v163
	v_fmac_f32_e32 v211, v187, v166
	v_fmac_f32_e32 v225, v183, v162
	v_mul_f32_e32 v204, v204, v165
	v_fmac_f32_e32 v204, v205, v164
	s_mov_b32 s6, 0x3f5ff5aa
	s_waitcnt vmcnt(2) lgkmcnt(1)
	v_mul_f32_e32 v146, v219, v177
	v_fma_f32 v230, v218, v176, -v146
	v_mul_f32_e32 v146, v189, v179
	v_fma_f32 v238, v188, v178, -v146
	s_waitcnt vmcnt(0)
	v_mul_f32_e32 v146, v215, v173
	v_fma_f32 v232, v214, v172, -v146
	v_mul_f32_e32 v146, v185, v175
	v_fma_f32 v239, v184, v174, -v146
	s_waitcnt lgkmcnt(0)
	v_mul_f32_e32 v146, v149, v169
	v_fma_f32 v234, v148, v168, -v146
	v_mul_f32_e32 v148, v148, v169
	v_mul_f32_e32 v146, v181, v171
	v_mul_f32_e32 v231, v188, v179
	v_mul_f32_e32 v233, v184, v175
	v_fmac_f32_e32 v148, v149, v168
	v_fma_f32 v149, v180, v170, -v146
	v_mul_f32_e32 v235, v180, v171
	v_add_co_u32_e32 v146, vcc, s2, v190
	v_fmac_f32_e32 v231, v189, v178
	v_fmac_f32_e32 v233, v185, v174
	v_fmac_f32_e32 v235, v181, v170
	v_addc_co_u32_e32 v147, vcc, 0, v191, vcc
	global_load_dwordx4 v[184:187], v[154:155], off offset:3872
	global_load_dwordx4 v[180:183], v[146:147], off offset:32
	;; [unrolled: 1-line block ×3, first 2 shown]
	v_mul_f32_e32 v218, v218, v177
	buffer_store_dword v240, off, s[20:23], 0 offset:144 ; 4-byte Folded Spill
	v_mul_f32_e32 v214, v214, v173
	v_fmac_f32_e32 v218, v219, v176
	v_fmac_f32_e32 v214, v215, v172
	v_sub_f32_e32 v147, v204, v229
	s_mov_b32 s2, 0xbeae86e6
	s_waitcnt vmcnt(3)
	v_mul_f32_e32 v146, v221, v185
	v_fma_f32 v250, v220, v184, -v146
	v_mul_f32_e32 v146, v153, v187
	v_fma_f32 v252, v152, v186, -v146
	s_waitcnt vmcnt(1)
	v_mul_f32_e32 v146, v217, v189
	v_fma_f32 v254, v216, v188, -v146
	v_mul_f32_e32 v216, v216, v189
	v_mul_f32_e32 v146, v145, v191
	v_fmac_f32_e32 v216, v217, v188
	v_fma_f32 v217, v144, v190, -v146
	v_mul_f32_e32 v248, v144, v191
	v_mul_f32_e32 v144, v151, v181
	v_fma_f32 v205, v150, v180, -v144
	v_mul_f32_e32 v150, v150, v181
	v_mul_f32_e32 v144, v247, v183
	v_fmac_f32_e32 v150, v151, v180
	v_fma_f32 v151, v246, v182, -v144
	v_subrev_u32_e32 v144, 54, v240
	v_cndmask_b32_e64 v144, v144, v249, s[0:1]
	v_fmac_f32_e32 v248, v145, v190
	v_mul_hi_i32_i24_e32 v145, 48, v144
	v_mul_i32_i24_e32 v144, 48, v144
	v_add_co_u32_e32 v144, vcc, s14, v144
	v_mov_b32_e32 v146, s15
	v_addc_co_u32_e32 v145, vcc, v146, v145, vcc
	global_load_dwordx4 v[240:243], v[144:145], off offset:1952
	global_load_dwordx4 v[0:3], v[144:145], off offset:1936
	;; [unrolled: 1-line block ×3, first 2 shown]
	v_mul_f32_e32 v253, v152, v187
	v_fmac_f32_e32 v253, v153, v186
	v_mul_f32_e32 v251, v220, v185
	v_fmac_f32_e32 v251, v221, v184
	v_add_f32_e32 v145, v204, v229
	v_add_f32_e32 v204, v222, v224
	v_sub_f32_e32 v146, v237, v228
	v_sub_f32_e32 v220, v225, v223
	s_mov_b32 s14, 0xbf3bfb3b
	v_mul_f32_e32 v246, v246, v183
	v_fmac_f32_e32 v246, v247, v182
	s_waitcnt vmcnt(1)
	v_mul_f32_e32 v154, v212, v1
	s_waitcnt vmcnt(0)
	v_mul_f32_e32 v144, v201, v5
	v_fma_f32 v210, v200, v4, -v144
	v_mul_f32_e32 v144, v197, v7
	v_mul_f32_e32 v219, v200, v5
	v_fma_f32 v215, v196, v6, -v144
	v_mul_f32_e32 v144, v213, v1
	v_fmac_f32_e32 v219, v201, v4
	v_mul_f32_e32 v152, v196, v7
	buffer_store_dword v4, off, s[20:23], 0 offset:476 ; 4-byte Folded Spill
	s_nop 0
	buffer_store_dword v5, off, s[20:23], 0 offset:480 ; 4-byte Folded Spill
	buffer_store_dword v6, off, s[20:23], 0 offset:484 ; 4-byte Folded Spill
	;; [unrolled: 1-line block ×3, first 2 shown]
	v_fma_f32 v153, v212, v0, -v144
	v_mul_f32_e32 v144, v195, v3
	v_fmac_f32_e32 v154, v213, v0
	v_fma_f32 v155, v194, v2, -v144
	v_mul_f32_e32 v212, v194, v3
	buffer_store_dword v0, off, s[20:23], 0 offset:460 ; 4-byte Folded Spill
	s_nop 0
	buffer_store_dword v1, off, s[20:23], 0 offset:464 ; 4-byte Folded Spill
	buffer_store_dword v2, off, s[20:23], 0 offset:468 ; 4-byte Folded Spill
	;; [unrolled: 1-line block ×3, first 2 shown]
	v_mul_f32_e32 v144, v193, v241
	v_add_f32_e32 v194, v236, v226
	v_add_f32_e32 v196, v211, v227
	v_sub_f32_e32 v200, v236, v226
	v_sub_f32_e32 v213, v224, v222
	;; [unrolled: 1-line block ×3, first 2 shown]
	v_add_f32_e32 v211, v223, v225
	v_add_f32_e32 v222, v196, v145
	v_sub_f32_e32 v224, v196, v145
	v_sub_f32_e32 v226, v145, v211
	;; [unrolled: 1-line block ×3, first 2 shown]
	v_add_f32_e32 v145, v220, v201
	v_sub_f32_e32 v227, v213, v200
	v_add_f32_e32 v211, v211, v222
	v_mul_f32_e32 v229, 0xbf08b237, v227
	v_mul_f32_e32 v222, 0x3d64c772, v196
	v_fmac_f32_e32 v152, v197, v6
	v_fma_f32 v197, v192, v240, -v144
	v_mul_f32_e32 v192, v192, v241
	v_mul_f32_e32 v144, v245, v243
	v_fmac_f32_e32 v192, v193, v240
	v_fma_f32 v193, v244, v242, -v144
	v_fmac_f32_e32 v212, v195, v2
	v_mul_f32_e32 v195, v244, v243
	buffer_store_dword v240, off, s[20:23], 0 offset:444 ; 4-byte Folded Spill
	s_nop 0
	buffer_store_dword v241, off, s[20:23], 0 offset:448 ; 4-byte Folded Spill
	buffer_store_dword v242, off, s[20:23], 0 offset:452 ; 4-byte Folded Spill
	;; [unrolled: 1-line block ×3, first 2 shown]
	v_add_f32_e32 v144, v237, v228
	v_add_f32_e32 v221, v194, v144
	v_sub_f32_e32 v223, v194, v144
	v_sub_f32_e32 v225, v144, v204
	;; [unrolled: 1-line block ×3, first 2 shown]
	v_add_f32_e32 v144, v213, v200
	v_add_f32_e32 v204, v204, v221
	v_sub_f32_e32 v213, v146, v213
	v_sub_f32_e32 v200, v200, v146
	v_add_f32_e32 v146, v144, v146
	v_add_f32_e32 v144, v206, v204
	v_sub_f32_e32 v228, v220, v201
	v_sub_f32_e32 v220, v147, v220
	;; [unrolled: 1-line block ×3, first 2 shown]
	v_add_f32_e32 v147, v145, v147
	v_add_f32_e32 v145, v207, v211
	v_mov_b32_e32 v227, v144
	v_mul_f32_e32 v206, 0x3f4a47b2, v225
	v_mul_f32_e32 v207, 0x3f4a47b2, v226
	;; [unrolled: 1-line block ×5, first 2 shown]
	v_fmac_f32_e32 v227, 0xbf955555, v204
	v_mov_b32_e32 v204, v145
	v_mul_f32_e32 v226, 0x3f5ff5aa, v201
	v_fmac_f32_e32 v204, 0xbf955555, v211
	v_fma_f32 v211, v223, s7, -v221
	v_fma_f32 v221, v224, s7, -v222
	;; [unrolled: 1-line block ×3, first 2 shown]
	v_fmac_f32_e32 v206, 0x3d64c772, v194
	v_fma_f32 v194, v224, s14, -v207
	v_fmac_f32_e32 v207, 0x3d64c772, v196
	v_fma_f32 v196, v200, s6, -v229
	v_fma_f32 v200, v201, s6, -v228
	;; [unrolled: 1-line block ×3, first 2 shown]
	v_fmac_f32_e32 v229, 0x3eae86e6, v213
	v_add_f32_e32 v194, v194, v204
	v_fmac_f32_e32 v201, 0x3ee1c552, v146
	v_fmac_f32_e32 v228, 0x3eae86e6, v220
	v_fma_f32 v213, v220, s2, -v226
	v_add_f32_e32 v206, v206, v227
	v_add_f32_e32 v207, v207, v204
	;; [unrolled: 1-line block ×5, first 2 shown]
	v_fmac_f32_e32 v229, 0x3ee1c552, v146
	v_fmac_f32_e32 v196, 0x3ee1c552, v146
	;; [unrolled: 1-line block ×3, first 2 shown]
	v_sub_f32_e32 v221, v194, v201
	v_add_f32_e32 v227, v201, v194
	v_add_f32_e32 v194, v230, v149
	;; [unrolled: 1-line block ×3, first 2 shown]
	v_fmac_f32_e32 v228, 0x3ee1c552, v147
	v_fmac_f32_e32 v213, 0x3ee1c552, v147
	v_sub_f32_e32 v147, v207, v229
	v_sub_f32_e32 v222, v211, v200
	v_add_f32_e32 v223, v196, v225
	v_add_f32_e32 v224, v200, v211
	v_sub_f32_e32 v225, v225, v196
	v_add_f32_e32 v229, v229, v207
	v_add_f32_e32 v196, v218, v235
	v_sub_f32_e32 v200, v218, v235
	v_add_f32_e32 v204, v231, v148
	v_add_f32_e32 v207, v232, v239
	v_add_f32_e32 v218, v201, v194
	v_add_f32_e32 v146, v228, v206
	;; [unrolled: 1-line block ×3, first 2 shown]
	v_sub_f32_e32 v226, v226, v213
	v_sub_f32_e32 v228, v206, v228
	;; [unrolled: 1-line block ×5, first 2 shown]
	v_add_f32_e32 v211, v214, v233
	v_sub_f32_e32 v213, v239, v232
	v_sub_f32_e32 v214, v233, v214
	v_add_f32_e32 v230, v204, v196
	v_sub_f32_e32 v232, v201, v194
	v_sub_f32_e32 v194, v194, v207
	v_sub_f32_e32 v201, v207, v201
	v_add_f32_e32 v207, v207, v218
	v_sub_f32_e32 v233, v204, v196
	v_sub_f32_e32 v196, v196, v211
	v_sub_f32_e32 v204, v211, v204
	v_add_f32_e32 v231, v213, v206
	v_sub_f32_e32 v236, v214, v148
	v_add_f32_e32 v211, v211, v230
	v_add_f32_e32 v230, v208, v207
	v_fmac_f32_e32 v195, v245, v242
	v_sub_f32_e32 v235, v213, v206
	v_sub_f32_e32 v213, v149, v213
	;; [unrolled: 1-line block ×3, first 2 shown]
	v_add_f32_e32 v149, v231, v149
	v_add_f32_e32 v231, v209, v211
	v_mul_f32_e32 v242, 0xbf08b237, v236
	v_mov_b32_e32 v236, v230
	v_add_f32_e32 v234, v214, v148
	v_sub_f32_e32 v148, v148, v200
	v_mul_f32_e32 v194, 0x3f4a47b2, v194
	v_mul_f32_e32 v196, 0x3f4a47b2, v196
	;; [unrolled: 1-line block ×4, first 2 shown]
	v_fmac_f32_e32 v236, 0xbf955555, v207
	v_mov_b32_e32 v207, v231
	v_sub_f32_e32 v214, v200, v214
	v_add_f32_e32 v200, v234, v200
	v_mul_f32_e32 v209, 0x3d64c772, v204
	v_mul_f32_e32 v235, 0x3f5ff5aa, v148
	v_fmac_f32_e32 v207, 0xbf955555, v211
	v_fma_f32 v208, v232, s7, -v208
	v_fma_f32 v211, v232, s14, -v194
	v_fmac_f32_e32 v194, 0x3d64c772, v201
	v_fma_f32 v201, v233, s14, -v196
	v_fmac_f32_e32 v196, 0x3d64c772, v204
	;; [unrolled: 2-line block ×3, first 2 shown]
	v_fma_f32 v148, v148, s6, -v242
	v_mul_f32_e32 v234, 0x3f5ff5aa, v206
	v_fma_f32 v209, v233, s7, -v209
	v_add_f32_e32 v196, v196, v207
	v_add_f32_e32 v208, v208, v236
	v_fmac_f32_e32 v218, 0x3ee1c552, v149
	v_fmac_f32_e32 v148, 0x3ee1c552, v200
	;; [unrolled: 1-line block ×3, first 2 shown]
	v_fma_f32 v206, v213, s2, -v234
	v_fma_f32 v213, v214, s2, -v235
	v_add_f32_e32 v194, v194, v236
	v_add_f32_e32 v209, v209, v207
	;; [unrolled: 1-line block ×3, first 2 shown]
	v_fmac_f32_e32 v204, 0x3ee1c552, v149
	v_sub_f32_e32 v233, v196, v218
	v_sub_f32_e32 v236, v208, v148
	v_add_f32_e32 v238, v148, v208
	v_add_f32_e32 v243, v218, v196
	;; [unrolled: 1-line block ×5, first 2 shown]
	v_fmac_f32_e32 v242, 0x3ee1c552, v200
	v_fmac_f32_e32 v206, 0x3ee1c552, v149
	;; [unrolled: 1-line block ×3, first 2 shown]
	v_add_f32_e32 v237, v204, v209
	v_sub_f32_e32 v239, v209, v204
	v_add_f32_e32 v149, v251, v246
	v_add_f32_e32 v200, v253, v150
	;; [unrolled: 1-line block ×5, first 2 shown]
	v_sub_f32_e32 v235, v201, v206
	v_sub_f32_e32 v240, v211, v213
	v_add_f32_e32 v241, v206, v201
	v_sub_f32_e32 v201, v252, v205
	v_add_f32_e32 v205, v216, v248
	;; [unrolled: 2-line block ×3, first 2 shown]
	v_sub_f32_e32 v211, v196, v148
	v_sub_f32_e32 v148, v148, v204
	;; [unrolled: 1-line block ×3, first 2 shown]
	v_add_f32_e32 v204, v204, v208
	v_sub_f32_e32 v151, v250, v151
	v_sub_f32_e32 v213, v200, v149
	;; [unrolled: 1-line block ×4, first 2 shown]
	v_add_f32_e32 v214, v206, v201
	v_sub_f32_e32 v217, v206, v201
	v_add_f32_e32 v205, v205, v209
	v_add_f32_e32 v244, v202, v204
	;; [unrolled: 1-line block ×3, first 2 shown]
	v_sub_f32_e32 v242, v194, v242
	v_sub_f32_e32 v194, v251, v246
	;; [unrolled: 1-line block ×6, first 2 shown]
	v_add_f32_e32 v151, v214, v151
	v_add_f32_e32 v245, v203, v205
	v_mul_f32_e32 v214, 0xbf08b237, v217
	v_mov_b32_e32 v217, v244
	v_add_f32_e32 v216, v207, v150
	v_sub_f32_e32 v218, v207, v150
	v_sub_f32_e32 v150, v150, v194
	v_mul_f32_e32 v148, 0x3f4a47b2, v148
	v_mul_f32_e32 v149, 0x3f4a47b2, v149
	;; [unrolled: 1-line block ×4, first 2 shown]
	v_fmac_f32_e32 v217, 0xbf955555, v204
	v_mov_b32_e32 v204, v245
	v_sub_f32_e32 v207, v194, v207
	v_add_f32_e32 v194, v216, v194
	v_mul_f32_e32 v202, 0x3d64c772, v196
	v_mul_f32_e32 v216, 0xbf08b237, v218
	;; [unrolled: 1-line block ×3, first 2 shown]
	v_fmac_f32_e32 v204, 0xbf955555, v205
	v_fma_f32 v203, v213, s7, -v203
	v_fma_f32 v205, v211, s14, -v148
	v_fmac_f32_e32 v148, 0x3d64c772, v196
	v_fma_f32 v196, v213, s14, -v149
	v_fmac_f32_e32 v149, 0x3d64c772, v200
	v_fma_f32 v200, v201, s6, -v214
	v_fma_f32 v201, v206, s2, -v208
	v_fma_f32 v202, v211, s7, -v202
	v_fmac_f32_e32 v214, 0x3eae86e6, v206
	v_fma_f32 v150, v150, s6, -v216
	v_fmac_f32_e32 v216, 0x3eae86e6, v207
	v_fma_f32 v206, v207, s2, -v209
	v_add_f32_e32 v203, v203, v204
	v_add_f32_e32 v196, v196, v204
	v_fmac_f32_e32 v200, 0x3ee1c552, v151
	v_fmac_f32_e32 v201, 0x3ee1c552, v151
	v_add_f32_e32 v202, v202, v217
	v_fmac_f32_e32 v216, 0x3ee1c552, v194
	v_fmac_f32_e32 v150, 0x3ee1c552, v194
	;; [unrolled: 1-line block ×3, first 2 shown]
	v_sub_f32_e32 v250, v196, v201
	v_add_f32_e32 v252, v200, v203
	v_sub_f32_e32 v254, v203, v200
	v_add_f32_e32 v209, v201, v196
	v_add_f32_e32 v194, v210, v193
	;; [unrolled: 1-line block ×6, first 2 shown]
	v_fmac_f32_e32 v214, 0x3ee1c552, v151
	v_sub_f32_e32 v251, v202, v150
	v_add_f32_e32 v253, v150, v202
	v_sub_f32_e32 v203, v215, v197
	v_sub_f32_e32 v197, v152, v192
	v_add_f32_e32 v150, v153, v155
	v_add_f32_e32 v151, v154, v212
	v_sub_f32_e32 v152, v155, v153
	v_sub_f32_e32 v153, v212, v154
	v_add_f32_e32 v154, v196, v194
	v_add_f32_e32 v155, v201, v200
	;; [unrolled: 1-line block ×4, first 2 shown]
	v_sub_f32_e32 v208, v205, v206
	v_sub_f32_e32 v202, v210, v193
	;; [unrolled: 1-line block ×7, first 2 shown]
	v_add_f32_e32 v192, v152, v203
	v_add_f32_e32 v193, v153, v197
	;; [unrolled: 1-line block ×5, first 2 shown]
	v_sub_f32_e32 v247, v149, v214
	v_add_f32_e32 v149, v214, v149
	v_sub_f32_e32 v214, v152, v203
	v_sub_f32_e32 v215, v153, v197
	;; [unrolled: 1-line block ×4, first 2 shown]
	v_add_f32_e32 v218, v192, v202
	v_add_f32_e32 v219, v193, v195
	;; [unrolled: 1-line block ×5, first 2 shown]
	v_sub_f32_e32 v148, v148, v216
	v_mul_f32_e32 v210, 0x3f4a47b2, v204
	v_mul_f32_e32 v216, 0x3f4a47b2, v205
	v_mul_f32_e32 v217, 0x3eae86e6, v152
	v_mul_f32_e32 v211, 0x3eae86e6, v153
	v_mov_b32_e32 v198, v192
	v_mov_b32_e32 v207, v193
	v_fmac_f32_e32 v198, 0xbf955555, v150
	v_fmac_f32_e32 v207, 0xbf955555, v151
	v_mov_b32_e32 v150, v210
	v_mov_b32_e32 v151, v216
	;; [unrolled: 1-line block ×4, first 2 shown]
	v_fmac_f32_e32 v150, 0x3d64c772, v212
	v_fmac_f32_e32 v151, 0x3d64c772, v213
	v_fmac_f32_e32 v199, 0xbf08b237, v214
	v_fmac_f32_e32 v204, 0xbf08b237, v215
	v_add_f32_e32 v205, v150, v198
	v_add_f32_e32 v206, v151, v207
	v_fmac_f32_e32 v199, 0x3ee1c552, v218
	v_fmac_f32_e32 v204, 0x3ee1c552, v219
	v_sub_f32_e32 v0, v205, v204
	v_add_f32_e32 v1, v199, v206
	buffer_store_dword v0, off, s[20:23], 0 ; 4-byte Folded Spill
	s_nop 0
	buffer_store_dword v1, off, s[20:23], 0 offset:4 ; 4-byte Folded Spill
	ds_write_b64 v255, v[146:147] offset:1944
	ds_write_b64 v255, v[220:221] offset:3888
	;; [unrolled: 1-line block ×6, first 2 shown]
	ds_write2_b64 v255, v[144:145], v[230:231] offset1:63
	ds_write_b64 v255, v[234:235] offset:4392
	ds_write_b64 v255, v[236:237] offset:6336
	;; [unrolled: 1-line block ×6, first 2 shown]
	v_add_u32_e32 v144, 0x800, v255
	ds_write2_b64 v144, v[232:233], v[246:247] offset0:50 offset1:113
	ds_write_b64 v255, v[249:250] offset:4896
	ds_write_b64 v255, v[251:252] offset:6840
	;; [unrolled: 1-line block ×5, first 2 shown]
	s_and_saveexec_b64 s[2:3], s[0:1]
	s_cbranch_execz .LBB0_5
; %bb.4:
	v_sub_f32_e32 v152, v203, v202
	s_mov_b32 s15, 0xbf5ff5aa
	v_mul_f32_e32 v148, 0x3ee1c552, v218
	v_fma_f32 v144, v152, s15, -v217
	v_sub_f32_e32 v154, v201, v200
	v_mul_f32_e32 v147, 0x3d64c772, v213
	v_add_f32_e32 v153, v148, v144
	v_fma_f32 v144, v154, s14, -v216
	v_sub_f32_e32 v194, v196, v194
	v_mul_f32_e32 v146, 0x3d64c772, v212
	v_mul_f32_e32 v150, 0xbf08b237, v214
	;; [unrolled: 1-line block ×3, first 2 shown]
	v_add_f32_e32 v155, v144, v207
	v_fma_f32 v144, v194, s14, -v210
	v_sub_f32_e32 v195, v197, v195
	v_fma_f32 v147, v154, s7, -v147
	v_mul_f32_e32 v149, 0x3ee1c552, v219
	v_add_f32_e32 v196, v144, v198
	v_fma_f32 v144, v195, s15, -v211
	v_add_f32_e32 v154, v147, v207
	v_fma_f32 v147, v152, s6, -v150
	v_fma_f32 v150, v195, s6, -v151
	;; [unrolled: 1-line block ×3, first 2 shown]
	v_add_f32_e32 v197, v149, v144
	v_add_f32_e32 v148, v148, v147
	;; [unrolled: 1-line block ×4, first 2 shown]
	v_sub_f32_e32 v195, v206, v199
	v_add_f32_e32 v194, v204, v205
	v_add_u32_e32 v152, 0x5c0, v255
	v_sub_f32_e32 v147, v154, v148
	v_add_f32_e32 v146, v150, v151
	v_add_f32_e32 v149, v148, v154
	v_sub_f32_e32 v148, v151, v150
	v_sub_f32_e32 v151, v155, v153
	v_add_f32_e32 v150, v197, v196
	ds_write2_b64 v152, v[192:193], v[194:195] offset0:5 offset1:248
	v_add_u32_e32 v152, 0x1500, v255
	v_add_f32_e32 v145, v153, v155
	v_sub_f32_e32 v144, v196, v197
	ds_write2_b64 v152, v[150:151], v[148:149] offset0:3 offset1:246
	v_add_u32_e32 v148, 0x2400, v255
	ds_write2_b64 v148, v[146:147], v[144:145] offset0:9 offset1:252
	buffer_load_dword v0, off, s[20:23], 0  ; 4-byte Folded Reload
	buffer_load_dword v1, off, s[20:23], 0 offset:4 ; 4-byte Folded Reload
	s_waitcnt vmcnt(0)
	ds_write_b64 v255, v[0:1] offset:13176
.LBB0_5:
	s_or_b64 exec, exec, s[2:3]
	buffer_load_dword v254, off, s[20:23], 0 offset:144 ; 4-byte Folded Reload
	v_mov_b32_e32 v145, s13
	s_waitcnt lgkmcnt(0)
	; wave barrier
	s_waitcnt lgkmcnt(0)
	v_add_u32_e32 v211, 0x2000, v255
	v_add_u32_e32 v212, 0x1000, v255
	;; [unrolled: 1-line block ×4, first 2 shown]
	s_waitcnt vmcnt(0)
	v_lshlrev_b32_e32 v144, 3, v254
	v_add_co_u32_e32 v152, vcc, s12, v144
	v_addc_co_u32_e32 v153, vcc, 0, v145, vcc
	v_add_co_u32_e32 v144, vcc, 0x3528, v152
	v_addc_co_u32_e32 v145, vcc, 0, v153, vcc
	;; [unrolled: 2-line block ×3, first 2 shown]
	global_load_dwordx2 v[148:149], v[144:145], off offset:504
	s_nop 0
	global_load_dwordx2 v[146:147], v[146:147], off offset:1320
	v_add_co_u32_e32 v150, vcc, 0x4000, v152
	s_mov_b64 s[2:3], vcc
	v_add_co_u32_e32 v200, vcc, 0x5000, v152
	v_addc_co_u32_e32 v201, vcc, 0, v153, vcc
	global_load_dwordx2 v[202:203], v[200:201], off offset:2200
	global_load_dwordx2 v[204:205], v[200:201], off offset:2704
	v_addc_co_u32_e64 v151, vcc, 0, v153, s[2:3]
	global_load_dwordx2 v[206:207], v[150:151], off offset:2264
	global_load_dwordx2 v[208:209], v[150:151], off offset:2768
	;; [unrolled: 1-line block ×8, first 2 shown]
	s_movk_i32 s2, 0x6000
	ds_read2_b64 v[192:195], v255 offset1:63
	v_add_co_u32_e32 v226, vcc, s2, v152
	v_addc_co_u32_e32 v227, vcc, 0, v153, vcc
	global_load_dwordx2 v[228:229], v[144:145], off offset:2016
	global_load_dwordx2 v[230:231], v[226:227], off offset:1128
	;; [unrolled: 1-line block ×4, first 2 shown]
	s_nop 0
	global_load_dwordx2 v[150:151], v[150:151], off offset:3776
	s_nop 0
	global_load_dwordx2 v[236:237], v[226:227], off offset:120
	global_load_dwordx2 v[238:239], v[226:227], off offset:624
	;; [unrolled: 1-line block ×6, first 2 shown]
	s_waitcnt vmcnt(22) lgkmcnt(0)
	v_mul_f32_e32 v152, v195, v149
	s_waitcnt vmcnt(21)
	v_mul_f32_e32 v153, v193, v147
	v_mul_f32_e32 v197, v192, v147
	v_fma_f32 v196, v192, v146, -v153
	v_fmac_f32_e32 v197, v193, v146
	ds_write_b64 v255, v[196:197]
	ds_read2_b64 v[196:199], v211 offset0:110 offset1:173
	v_mul_f32_e32 v147, v194, v149
	v_fma_f32 v146, v194, v148, -v152
	v_fmac_f32_e32 v147, v195, v148
	ds_read2_b64 v[192:195], v212 offset0:118 offset1:181
	s_waitcnt vmcnt(20) lgkmcnt(1)
	v_mul_f32_e32 v148, v197, v203
	v_mul_f32_e32 v149, v196, v203
	s_waitcnt vmcnt(19)
	v_mul_f32_e32 v152, v199, v205
	v_mul_f32_e32 v203, v198, v205
	v_fma_f32 v148, v196, v202, -v148
	v_fmac_f32_e32 v149, v197, v202
	v_fma_f32 v202, v198, v204, -v152
	v_fmac_f32_e32 v203, v199, v204
	ds_read2_b64 v[196:199], v213 offset0:120 offset1:183
	s_waitcnt vmcnt(18) lgkmcnt(1)
	v_mul_f32_e32 v152, v193, v207
	v_mul_f32_e32 v205, v192, v207
	v_fma_f32 v204, v192, v206, -v152
	s_waitcnt vmcnt(17)
	v_mul_f32_e32 v152, v195, v209
	v_mul_f32_e32 v207, v194, v209
	v_fmac_f32_e32 v205, v193, v206
	v_fma_f32 v206, v194, v208, -v152
	v_fmac_f32_e32 v207, v195, v208
	ds_read2_b64 v[192:195], v255 offset0:126 offset1:189
	global_load_dwordx2 v[208:209], v[200:201], off offset:688
	s_waitcnt vmcnt(17) lgkmcnt(1)
	v_mul_f32_e32 v152, v199, v215
	global_load_dwordx2 v[144:145], v[144:145], off offset:4032
	v_mul_f32_e32 v201, v198, v215
	v_fma_f32 v200, v198, v214, -v152
	v_fmac_f32_e32 v201, v199, v214
	v_add_u32_e32 v214, 0x2400, v255
	ds_write2_b64 v212, v[200:201], v[204:205] offset0:55 offset1:118
	ds_read2_b64 v[198:201], v214 offset0:108 offset1:171
	s_waitcnt vmcnt(17) lgkmcnt(2)
	v_mul_f32_e32 v152, v193, v217
	v_mul_f32_e32 v247, v192, v217
	v_fma_f32 v246, v192, v216, -v152
	v_fmac_f32_e32 v247, v193, v216
	ds_write2_b64 v255, v[146:147], v[246:247] offset0:63 offset1:126
	s_waitcnt vmcnt(16) lgkmcnt(1)
	v_mul_f32_e32 v146, v199, v219
	v_mul_f32_e32 v147, v198, v219
	v_fma_f32 v146, v198, v218, -v146
	v_fmac_f32_e32 v147, v199, v218
	s_waitcnt vmcnt(15)
	v_mul_f32_e32 v152, v195, v221
	v_mul_f32_e32 v199, v194, v221
	v_add_u32_e32 v218, 0x1400, v255
	v_fma_f32 v198, v194, v220, -v152
	v_fmac_f32_e32 v199, v195, v220
	ds_read2_b64 v[192:195], v218 offset0:116 offset1:179
	ds_write2_b64 v211, v[202:203], v[146:147] offset0:173 offset1:236
	global_load_dwordx2 v[246:247], v[226:227], off offset:1632
	v_add_u32_e32 v219, 0x400, v255
	ds_read2_b64 v[202:205], v219 offset0:124 offset1:187
	s_waitcnt vmcnt(15) lgkmcnt(2)
	v_mul_f32_e32 v146, v193, v223
	v_mul_f32_e32 v147, v192, v223
	v_fma_f32 v146, v192, v222, -v146
	v_fmac_f32_e32 v147, v193, v222
	ds_write2_b64 v212, v[206:207], v[146:147] offset0:181 offset1:244
	global_load_dwordx2 v[146:147], v[226:227], off offset:2136
	s_waitcnt vmcnt(15)
	v_mul_f32_e32 v152, v201, v225
	v_mul_f32_e32 v193, v200, v225
	v_fma_f32 v192, v200, v224, -v152
	v_fmac_f32_e32 v193, v201, v224
	s_waitcnt vmcnt(14) lgkmcnt(1)
	v_mul_f32_e32 v152, v203, v229
	v_mul_f32_e32 v201, v202, v229
	v_fma_f32 v200, v202, v228, -v152
	v_fmac_f32_e32 v201, v203, v228
	v_add_u32_e32 v215, 0x2800, v255
	ds_write2_b64 v255, v[198:199], v[200:201] offset0:189 offset1:252
	ds_read2_b64 v[198:201], v215 offset0:106 offset1:169
	s_waitcnt vmcnt(10)
	v_mul_f32_e32 v152, v195, v151
	v_mul_f32_e32 v203, v194, v151
	v_fma_f32 v202, v194, v150, -v152
	v_fmac_f32_e32 v203, v195, v150
	s_waitcnt vmcnt(9) lgkmcnt(0)
	v_mul_f32_e32 v150, v199, v237
	v_mul_f32_e32 v151, v198, v237
	v_fma_f32 v150, v198, v236, -v150
	v_fmac_f32_e32 v151, v199, v236
	v_add_u32_e32 v216, 0x1800, v255
	ds_write2_b64 v215, v[192:193], v[150:151] offset0:43 offset1:106
	ds_read2_b64 v[192:195], v216 offset0:114 offset1:177
	v_mul_f32_e32 v150, v205, v233
	v_mul_f32_e32 v151, v204, v233
	v_fma_f32 v150, v204, v232, -v150
	v_fmac_f32_e32 v151, v205, v232
	s_waitcnt vmcnt(5) lgkmcnt(0)
	v_mul_f32_e32 v152, v193, v245
	v_mul_f32_e32 v199, v192, v245
	v_fma_f32 v198, v192, v244, -v152
	v_fmac_f32_e32 v199, v193, v244
	ds_write2_b64 v216, v[202:203], v[198:199] offset0:51 offset1:114
	ds_read2_b64 v[202:205], v210 offset0:122 offset1:185
	v_mul_f32_e32 v152, v201, v239
	v_fma_f32 v192, v200, v238, -v152
	v_mul_f32_e32 v193, v200, v239
	v_add_u32_e32 v220, 0x2c00, v255
	s_waitcnt lgkmcnt(0)
	v_mul_f32_e32 v152, v203, v235
	v_mul_f32_e32 v199, v202, v235
	v_fma_f32 v198, v202, v234, -v152
	v_fmac_f32_e32 v199, v203, v234
	v_fmac_f32_e32 v193, v201, v238
	ds_write2_b64 v210, v[150:151], v[198:199] offset0:59 offset1:122
	ds_read2_b64 v[198:201], v220 offset0:104 offset1:167
	v_add_u32_e32 v217, 0x1c00, v255
	s_waitcnt vmcnt(3)
	v_mul_f32_e32 v151, v194, v209
	v_mul_f32_e32 v150, v195, v209
	v_fmac_f32_e32 v151, v195, v208
	s_waitcnt lgkmcnt(0)
	v_mul_f32_e32 v152, v199, v231
	v_mul_f32_e32 v195, v198, v231
	v_fma_f32 v150, v194, v208, -v150
	v_fma_f32 v194, v198, v230, -v152
	v_fmac_f32_e32 v195, v199, v230
	ds_write2_b64 v215, v[192:193], v[194:195] offset0:169 offset1:232
	ds_read2_b64 v[192:195], v217 offset0:112 offset1:175
	v_mul_f32_e32 v152, v205, v249
	v_fma_f32 v198, v204, v248, -v152
	v_mul_f32_e32 v199, v204, v249
	v_fmac_f32_e32 v199, v205, v248
	s_waitcnt lgkmcnt(0)
	v_mul_f32_e32 v152, v193, v241
	v_mul_f32_e32 v203, v192, v241
	v_fma_f32 v202, v192, v240, -v152
	v_fmac_f32_e32 v203, v193, v240
	s_waitcnt vmcnt(2)
	v_mul_f32_e32 v152, v197, v145
	v_mul_f32_e32 v193, v196, v145
	v_fma_f32 v192, v196, v144, -v152
	v_fmac_f32_e32 v193, v197, v144
	ds_read_b64 v[144:145], v255 offset:13104
	ds_write2_b64 v210, v[198:199], v[192:193] offset0:185 offset1:248
	v_mul_f32_e32 v152, v195, v243
	v_mul_f32_e32 v193, v194, v243
	v_fma_f32 v192, v194, v242, -v152
	v_fmac_f32_e32 v193, v195, v242
	ds_write2_b64 v216, v[150:151], v[202:203] offset0:177 offset1:240
	s_waitcnt vmcnt(1)
	v_mul_f32_e32 v150, v201, v247
	v_mul_f32_e32 v151, v200, v247
	ds_write2_b64 v211, v[192:193], v[148:149] offset0:47 offset1:110
	v_fma_f32 v150, v200, v246, -v150
	s_waitcnt vmcnt(0) lgkmcnt(3)
	v_mul_f32_e32 v148, v145, v147
	v_mul_f32_e32 v149, v144, v147
	v_fmac_f32_e32 v151, v201, v246
	v_fma_f32 v148, v144, v146, -v148
	v_fmac_f32_e32 v149, v145, v146
	v_add_u32_e32 v144, 0x3000, v255
	ds_write2_b64 v144, v[150:151], v[148:149] offset0:39 offset1:102
	s_waitcnt lgkmcnt(0)
	; wave barrier
	s_waitcnt lgkmcnt(0)
	ds_read2_b64 v[244:247], v255 offset1:63
	ds_read2_b64 v[192:195], v213 offset0:120 offset1:183
	ds_read2_b64 v[248:251], v211 offset0:110 offset1:173
	;; [unrolled: 1-line block ×9, first 2 shown]
	ds_read_b64 v[148:149], v255 offset:13104
	s_waitcnt lgkmcnt(9)
	v_add_f32_e32 v144, v244, v194
	s_waitcnt lgkmcnt(8)
	v_add_f32_e32 v150, v144, v248
	v_add_f32_e32 v144, v194, v248
	v_fma_f32 v208, -0.5, v144, v244
	v_add_f32_e32 v144, v245, v195
	v_add_f32_e32 v151, v144, v249
	;; [unrolled: 1-line block ×3, first 2 shown]
	v_sub_f32_e32 v152, v195, v249
	v_fma_f32 v209, -0.5, v144, v245
	ds_read2_b64 v[204:207], v210 offset0:122 offset1:185
	ds_read2_b64 v[241:244], v220 offset0:104 offset1:167
	;; [unrolled: 1-line block ×3, first 2 shown]
	s_waitcnt lgkmcnt(0)
	; wave barrier
	s_waitcnt lgkmcnt(0)
	buffer_load_dword v195, off, s[20:23], 0 offset:304 ; 4-byte Folded Reload
	v_sub_f32_e32 v153, v194, v248
	v_mov_b32_e32 v252, v208
	v_mov_b32_e32 v253, v209
	v_fmac_f32_e32 v208, 0x3f5db3d7, v152
	v_fmac_f32_e32 v209, 0xbf5db3d7, v153
	;; [unrolled: 1-line block ×4, first 2 shown]
	v_add_f32_e32 v154, v221, v250
	v_add_f32_e32 v194, v222, v251
	v_sub_f32_e32 v155, v222, v251
	v_add_f32_e32 v152, v223, v225
	v_sub_f32_e32 v245, v223, v225
	v_sub_f32_e32 v153, v224, v226
	;; [unrolled: 1-line block ×3, first 2 shown]
	v_add_f32_e32 v249, v147, v149
	s_waitcnt vmcnt(0)
	ds_write_b64 v195, v[208:209] offset:16
	buffer_load_dword v208, off, s[20:23], 0 offset:300 ; 4-byte Folded Reload
	ds_write2_b64 v195, v[150:151], v[252:253] offset1:1
	v_add_f32_e32 v150, v246, v221
	v_add_f32_e32 v151, v247, v222
	v_fma_f32 v246, -0.5, v154, v246
	v_fmac_f32_e32 v247, -0.5, v194
	v_sub_f32_e32 v221, v221, v250
	v_mov_b32_e32 v194, v246
	v_mov_b32_e32 v195, v247
	v_add_f32_e32 v150, v150, v250
	v_add_f32_e32 v151, v151, v251
	v_fmac_f32_e32 v194, 0xbf5db3d7, v155
	v_fmac_f32_e32 v195, 0x3f5db3d7, v221
	;; [unrolled: 1-line block ×4, first 2 shown]
	v_add_f32_e32 v155, v202, v229
	v_add_f32_e32 v221, v198, v237
	;; [unrolled: 1-line block ×3, first 2 shown]
	v_sub_f32_e32 v250, v146, v148
	v_add_f32_e32 v154, v224, v226
	v_add_f32_e32 v209, v197, v232
	;; [unrolled: 1-line block ×5, first 2 shown]
	s_waitcnt vmcnt(0)
	ds_write2_b64 v208, v[150:151], v[194:195] offset1:1
	v_add_f32_e32 v150, v200, v223
	v_add_f32_e32 v150, v150, v225
	ds_write_b64 v208, v[246:247] offset:16
	v_add_f32_e32 v208, v196, v231
	v_add_f32_e32 v223, v204, v239
	;; [unrolled: 1-line block ×5, first 2 shown]
	v_sub_f32_e32 v227, v229, v227
	v_add_f32_e32 v229, v231, v233
	v_sub_f32_e32 v231, v231, v233
	v_add_f32_e32 v208, v208, v233
	v_add_f32_e32 v233, v237, v235
	v_sub_f32_e32 v235, v237, v235
	v_add_f32_e32 v237, v239, v241
	v_sub_f32_e32 v239, v239, v241
	v_add_f32_e32 v223, v223, v241
	v_add_f32_e32 v225, v225, v243
	;; [unrolled: 1-line block ×3, first 2 shown]
	v_sub_f32_e32 v243, v144, v243
	v_add_f32_e32 v144, v192, v146
	v_add_f32_e32 v247, v146, v148
	v_fma_f32 v146, -0.5, v152, v200
	buffer_load_dword v152, off, s[20:23], 0 offset:236 ; 4-byte Folded Reload
	v_add_f32_e32 v151, v201, v224
	v_add_f32_e32 v151, v151, v226
	;; [unrolled: 1-line block ×5, first 2 shown]
	v_sub_f32_e32 v246, v230, v228
	v_add_f32_e32 v195, v195, v228
	v_add_f32_e32 v228, v230, v228
	v_sub_f32_e32 v230, v232, v234
	v_add_f32_e32 v232, v232, v234
	v_sub_f32_e32 v234, v238, v236
	;; [unrolled: 2-line block ×3, first 2 shown]
	v_add_f32_e32 v240, v240, v242
	v_add_f32_e32 v224, v224, v242
	;; [unrolled: 1-line block ×3, first 2 shown]
	v_sub_f32_e32 v242, v145, v244
	v_add_f32_e32 v244, v145, v244
	v_add_f32_e32 v145, v193, v147
	v_fma_f32 v147, -0.5, v154, v201
	v_add_f32_e32 v144, v144, v148
	v_add_f32_e32 v145, v145, v149
	v_mov_b32_e32 v148, v146
	v_mov_b32_e32 v149, v147
	v_fmac_f32_e32 v148, 0xbf5db3d7, v153
	v_fmac_f32_e32 v149, 0x3f5db3d7, v245
	v_fmac_f32_e32 v146, 0x3f5db3d7, v153
	v_fmac_f32_e32 v147, 0xbf5db3d7, v245
	s_waitcnt vmcnt(0)
	ds_write2_b64 v152, v[150:151], v[148:149] offset1:1
	ds_write_b64 v152, v[146:147] offset:16
	buffer_load_dword v146, off, s[20:23], 0 offset:240 ; 4-byte Folded Reload
	v_fma_f32 v202, -0.5, v155, v202
	v_fmac_f32_e32 v203, -0.5, v228
	v_mov_b32_e32 v200, v202
	v_mov_b32_e32 v201, v203
	v_fmac_f32_e32 v200, 0xbf5db3d7, v246
	v_fmac_f32_e32 v201, 0x3f5db3d7, v227
	;; [unrolled: 1-line block ×4, first 2 shown]
	s_waitcnt vmcnt(0)
	ds_write2_b64 v146, v[194:195], v[200:201] offset1:1
	ds_write_b64 v146, v[202:203] offset:16
	buffer_load_dword v146, off, s[20:23], 0 offset:244 ; 4-byte Folded Reload
	v_fma_f32 v196, -0.5, v229, v196
	v_fma_f32 v197, -0.5, v232, v197
	v_mov_b32_e32 v227, v196
	v_mov_b32_e32 v228, v197
	v_fmac_f32_e32 v227, 0xbf5db3d7, v230
	v_fmac_f32_e32 v228, 0x3f5db3d7, v231
	v_fmac_f32_e32 v196, 0x3f5db3d7, v230
	v_fmac_f32_e32 v197, 0xbf5db3d7, v231
	s_waitcnt vmcnt(0)
	ds_write2_b64 v146, v[208:209], v[227:228] offset1:1
	ds_write_b64 v146, v[196:197] offset:16
	buffer_load_dword v146, off, s[20:23], 0 offset:248 ; 4-byte Folded Reload
	v_fma_f32 v198, -0.5, v233, v198
	v_fmac_f32_e32 v199, -0.5, v236
	v_mov_b32_e32 v229, v198
	v_mov_b32_e32 v230, v199
	v_fmac_f32_e32 v229, 0xbf5db3d7, v234
	v_fmac_f32_e32 v230, 0x3f5db3d7, v235
	;; [unrolled: 1-line block ×4, first 2 shown]
	s_waitcnt vmcnt(0)
	ds_write2_b64 v146, v[221:222], v[229:230] offset1:1
	ds_write_b64 v146, v[198:199] offset:16
	buffer_load_dword v146, off, s[20:23], 0 offset:252 ; 4-byte Folded Reload
	v_fma_f32 v204, -0.5, v237, v204
	v_fma_f32 v205, -0.5, v240, v205
	v_mov_b32_e32 v231, v204
	v_mov_b32_e32 v232, v205
	v_fmac_f32_e32 v231, 0xbf5db3d7, v238
	v_fmac_f32_e32 v232, 0x3f5db3d7, v239
	;; [unrolled: 1-line block ×4, first 2 shown]
	s_waitcnt vmcnt(0)
	ds_write2_b64 v146, v[223:224], v[231:232] offset1:1
	ds_write_b64 v146, v[204:205] offset:16
	buffer_load_dword v146, off, s[20:23], 0 offset:256 ; 4-byte Folded Reload
	v_fma_f32 v206, -0.5, v241, v206
	v_fmac_f32_e32 v207, -0.5, v244
	v_mov_b32_e32 v233, v206
	v_mov_b32_e32 v234, v207
	v_fmac_f32_e32 v233, 0xbf5db3d7, v242
	v_fmac_f32_e32 v234, 0x3f5db3d7, v243
	;; [unrolled: 1-line block ×4, first 2 shown]
	s_waitcnt vmcnt(0)
	ds_write2_b64 v146, v[225:226], v[233:234] offset1:1
	ds_write_b64 v146, v[206:207] offset:16
	buffer_load_dword v146, off, s[20:23], 0 offset:260 ; 4-byte Folded Reload
	v_fma_f32 v192, -0.5, v247, v192
	v_fmac_f32_e32 v193, -0.5, v249
	v_mov_b32_e32 v235, v192
	v_mov_b32_e32 v236, v193
	v_fmac_f32_e32 v235, 0xbf5db3d7, v248
	v_fmac_f32_e32 v192, 0x3f5db3d7, v248
	;; [unrolled: 1-line block ×4, first 2 shown]
	s_waitcnt vmcnt(0)
	ds_write2_b64 v146, v[144:145], v[235:236] offset1:1
	ds_write_b64 v146, v[192:193] offset:16
	s_waitcnt lgkmcnt(0)
	; wave barrier
	s_waitcnt lgkmcnt(0)
	ds_read2_b64 v[144:147], v255 offset1:63
	ds_read2_b64 v[192:195], v213 offset0:120 offset1:183
	ds_read2_b64 v[196:199], v211 offset0:110 offset1:173
	;; [unrolled: 1-line block ×12, first 2 shown]
	ds_read_b64 v[148:149], v255 offset:13104
	buffer_load_dword v0, off, s[20:23], 0 offset:388 ; 4-byte Folded Reload
	buffer_load_dword v1, off, s[20:23], 0 offset:392 ; 4-byte Folded Reload
	;; [unrolled: 1-line block ×8, first 2 shown]
	s_waitcnt lgkmcnt(5)
	v_mul_f32_e32 v209, v19, v234
	v_fmac_f32_e32 v209, v18, v233
	s_waitcnt lgkmcnt(0)
	; wave barrier
	s_waitcnt vmcnt(6) lgkmcnt(0)
	v_mul_f32_e32 v150, v1, v195
	v_mul_f32_e32 v1, v1, v194
	v_fmac_f32_e32 v150, v0, v194
	v_fma_f32 v151, v0, v195, -v1
	s_waitcnt vmcnt(4)
	v_mul_f32_e32 v0, v3, v196
	v_mul_f32_e32 v152, v3, v197
	v_fma_f32 v3, v2, v197, -v0
	s_waitcnt vmcnt(2)
	v_mul_f32_e32 v0, v5, v200
	v_fma_f32 v154, v4, v201, -v0
	s_waitcnt vmcnt(0)
	v_mul_f32_e32 v0, v7, v198
	v_fma_f32 v194, v6, v199, -v0
	v_mul_f32_e32 v0, v9, v202
	v_fmac_f32_e32 v152, v2, v196
	v_mul_f32_e32 v155, v7, v199
	v_fma_f32 v196, v8, v203, -v0
	v_mul_f32_e32 v0, v11, v221
	v_mul_f32_e32 v153, v5, v201
	v_fmac_f32_e32 v155, v6, v198
	v_fma_f32 v198, v10, v222, -v0
	v_mul_f32_e32 v0, v13, v225
	v_fmac_f32_e32 v153, v4, v200
	v_mul_f32_e32 v195, v9, v203
	v_fma_f32 v200, v12, v226, -v0
	v_mul_f32_e32 v0, v15, v223
	v_fmac_f32_e32 v195, v8, v202
	v_fma_f32 v202, v14, v224, -v0
	v_mul_f32_e32 v0, v17, v227
	v_mul_f32_e32 v197, v11, v222
	v_fma_f32 v208, v16, v228, -v0
	v_mul_f32_e32 v0, v19, v233
	v_fmac_f32_e32 v197, v10, v221
	v_mul_f32_e32 v201, v15, v224
	v_fma_f32 v221, v18, v234, -v0
	v_mul_f32_e32 v0, v21, v237
	v_mul_f32_e32 v199, v13, v226
	v_fmac_f32_e32 v201, v14, v223
	v_fma_f32 v223, v20, v238, -v0
	v_mul_f32_e32 v0, v23, v235
	v_fmac_f32_e32 v199, v12, v225
	v_mul_f32_e32 v203, v17, v228
	v_fma_f32 v225, v22, v236, -v0
	v_mul_f32_e32 v0, v25, v239
	v_fmac_f32_e32 v203, v16, v227
	v_fma_f32 v227, v24, v240, -v0
	v_mul_f32_e32 v0, v27, v245
	v_add_f32_e32 v1, v150, v152
	v_mul_f32_e32 v224, v23, v236
	v_fma_f32 v233, v26, v246, -v0
	v_mul_f32_e32 v0, v29, v249
	v_fma_f32 v2, -0.5, v1, v144
	v_mul_f32_e32 v222, v21, v238
	v_fmac_f32_e32 v224, v22, v235
	v_fma_f32 v235, v28, v250, -v0
	v_mul_f32_e32 v0, v31, v247
	v_sub_f32_e32 v1, v151, v3
	v_mov_b32_e32 v4, v2
	v_fmac_f32_e32 v222, v20, v237
	v_mul_f32_e32 v226, v25, v240
	v_mul_f32_e32 v228, v27, v246
	;; [unrolled: 1-line block ×4, first 2 shown]
	v_fma_f32 v237, v30, v248, -v0
	v_mul_f32_e32 v238, v33, v252
	v_mul_f32_e32 v0, v33, v251
	v_fmac_f32_e32 v4, 0xbf5db3d7, v1
	v_fmac_f32_e32 v2, 0x3f5db3d7, v1
	v_add_f32_e32 v1, v145, v151
	v_add_f32_e32 v33, v227, v233
	v_fmac_f32_e32 v226, v24, v239
	v_fmac_f32_e32 v228, v26, v245
	;; [unrolled: 1-line block ×4, first 2 shown]
	v_fma_f32 v239, v32, v252, -v0
	v_mul_f32_e32 v0, v35, v148
	v_add_f32_e32 v1, v1, v3
	v_add_f32_e32 v3, v151, v3
	v_fma_f32 v33, -0.5, v33, v242
	v_mul_f32_e32 v240, v35, v149
	v_fma_f32 v245, v34, v149, -v0
	v_add_f32_e32 v0, v144, v150
	v_fma_f32 v3, -0.5, v3, v145
	v_sub_f32_e32 v144, v226, v228
	v_mov_b32_e32 v35, v33
	v_add_f32_e32 v145, v234, v236
	v_fmac_f32_e32 v35, 0x3f5db3d7, v144
	v_fmac_f32_e32 v33, 0xbf5db3d7, v144
	v_add_f32_e32 v144, v243, v234
	v_fma_f32 v243, -0.5, v145, v243
	v_fmac_f32_e32 v240, v34, v148
	v_sub_f32_e32 v6, v150, v152
	v_mov_b32_e32 v5, v3
	v_add_f32_e32 v7, v153, v155
	v_sub_f32_e32 v145, v235, v237
	v_mov_b32_e32 v148, v243
	v_add_f32_e32 v149, v235, v237
	v_fmac_f32_e32 v238, v32, v251
	v_fmac_f32_e32 v5, 0x3f5db3d7, v6
	;; [unrolled: 1-line block ×3, first 2 shown]
	v_add_f32_e32 v6, v146, v153
	v_fma_f32 v146, -0.5, v7, v146
	v_fmac_f32_e32 v148, 0xbf5db3d7, v145
	v_fmac_f32_e32 v243, 0x3f5db3d7, v145
	v_add_f32_e32 v145, v244, v235
	v_fmac_f32_e32 v244, -0.5, v149
	v_sub_f32_e32 v7, v154, v194
	v_mov_b32_e32 v8, v146
	v_sub_f32_e32 v150, v234, v236
	v_mov_b32_e32 v149, v244
	v_add_f32_e32 v151, v238, v240
	v_fmac_f32_e32 v8, 0xbf5db3d7, v7
	v_fmac_f32_e32 v146, 0x3f5db3d7, v7
	v_add_f32_e32 v7, v147, v154
	v_add_f32_e32 v9, v154, v194
	v_fmac_f32_e32 v149, 0x3f5db3d7, v150
	v_fmac_f32_e32 v244, 0xbf5db3d7, v150
	v_add_f32_e32 v150, v192, v238
	v_fma_f32 v192, -0.5, v151, v192
	v_add_f32_e32 v0, v0, v152
	v_add_f32_e32 v7, v7, v194
	v_fmac_f32_e32 v147, -0.5, v9
	v_sub_f32_e32 v151, v239, v245
	v_mov_b32_e32 v194, v192
	v_add_f32_e32 v152, v239, v245
	v_sub_f32_e32 v10, v153, v155
	v_mov_b32_e32 v9, v147
	v_fmac_f32_e32 v194, 0xbf5db3d7, v151
	v_fmac_f32_e32 v192, 0x3f5db3d7, v151
	v_add_f32_e32 v151, v193, v239
	v_fmac_f32_e32 v193, -0.5, v152
	v_fmac_f32_e32 v9, 0x3f5db3d7, v10
	v_fmac_f32_e32 v147, 0xbf5db3d7, v10
	v_add_f32_e32 v10, v204, v195
	v_add_f32_e32 v11, v195, v197
	v_sub_f32_e32 v16, v195, v197
	v_sub_f32_e32 v152, v238, v240
	v_mov_b32_e32 v195, v193
	v_fmac_f32_e32 v195, 0x3f5db3d7, v152
	v_fmac_f32_e32 v193, 0xbf5db3d7, v152
	buffer_load_dword v152, off, s[20:23], 0 offset:264 ; 4-byte Folded Reload
	s_waitcnt vmcnt(0)
	ds_write2_b64 v152, v[0:1], v[4:5] offset1:3
	ds_write_b64 v152, v[2:3] offset:48
	buffer_load_dword v0, off, s[20:23], 0 offset:268 ; 4-byte Folded Reload
	v_add_f32_e32 v6, v6, v155
	s_waitcnt vmcnt(0)
	ds_write2_b64 v0, v[6:7], v[8:9] offset1:3
	ds_write_b64 v0, v[146:147] offset:48
	buffer_load_dword v0, off, s[20:23], 0 offset:272 ; 4-byte Folded Reload
	v_fma_f32 v12, -0.5, v11, v204
	v_add_f32_e32 v13, v196, v198
	v_sub_f32_e32 v11, v196, v198
	v_mov_b32_e32 v14, v12
	v_fma_f32 v13, -0.5, v13, v205
	v_fmac_f32_e32 v14, 0xbf5db3d7, v11
	v_fmac_f32_e32 v12, 0x3f5db3d7, v11
	v_add_f32_e32 v11, v205, v196
	v_mov_b32_e32 v15, v13
	v_add_f32_e32 v10, v10, v197
	v_add_f32_e32 v11, v11, v198
	v_fmac_f32_e32 v15, 0x3f5db3d7, v16
	v_fmac_f32_e32 v13, 0xbf5db3d7, v16
	s_waitcnt vmcnt(0)
	ds_write2_b64 v0, v[10:11], v[14:15] offset1:3
	ds_write_b64 v0, v[12:13] offset:48
	buffer_load_dword v0, off, s[20:23], 0 offset:276 ; 4-byte Folded Reload
	v_add_f32_e32 v17, v199, v201
	v_add_f32_e32 v16, v206, v199
	v_fma_f32 v206, -0.5, v17, v206
	v_sub_f32_e32 v17, v200, v202
	v_mov_b32_e32 v18, v206
	v_add_f32_e32 v19, v200, v202
	v_fmac_f32_e32 v18, 0xbf5db3d7, v17
	v_fmac_f32_e32 v206, 0x3f5db3d7, v17
	v_add_f32_e32 v17, v207, v200
	v_fmac_f32_e32 v207, -0.5, v19
	v_sub_f32_e32 v20, v199, v201
	v_mov_b32_e32 v19, v207
	v_add_f32_e32 v16, v16, v201
	v_add_f32_e32 v17, v17, v202
	v_fmac_f32_e32 v19, 0x3f5db3d7, v20
	v_fmac_f32_e32 v207, 0xbf5db3d7, v20
	s_waitcnt vmcnt(0)
	ds_write2_b64 v0, v[16:17], v[18:19] offset1:3
	ds_write_b64 v0, v[206:207] offset:48
	buffer_load_dword v0, off, s[20:23], 0 offset:280 ; 4-byte Folded Reload
	v_add_f32_e32 v21, v203, v209
	v_fma_f32 v22, -0.5, v21, v229
	v_add_f32_e32 v23, v208, v221
	v_sub_f32_e32 v21, v208, v221
	v_mov_b32_e32 v24, v22
	v_fma_f32 v23, -0.5, v23, v230
	v_add_f32_e32 v20, v229, v203
	v_fmac_f32_e32 v24, 0xbf5db3d7, v21
	v_fmac_f32_e32 v22, 0x3f5db3d7, v21
	v_add_f32_e32 v21, v230, v208
	v_sub_f32_e32 v26, v203, v209
	v_mov_b32_e32 v25, v23
	v_add_f32_e32 v20, v20, v209
	v_add_f32_e32 v21, v21, v221
	v_fmac_f32_e32 v25, 0x3f5db3d7, v26
	v_fmac_f32_e32 v23, 0xbf5db3d7, v26
	s_waitcnt vmcnt(0)
	ds_write2_b64 v0, v[20:21], v[24:25] offset1:3
	ds_write_b64 v0, v[22:23] offset:48
	buffer_load_dword v0, off, s[20:23], 0 offset:284 ; 4-byte Folded Reload
	v_add_f32_e32 v27, v222, v224
	v_add_f32_e32 v26, v231, v222
	v_fma_f32 v231, -0.5, v27, v231
	v_sub_f32_e32 v27, v223, v225
	v_mov_b32_e32 v28, v231
	v_add_f32_e32 v29, v223, v225
	v_fmac_f32_e32 v28, 0xbf5db3d7, v27
	v_fmac_f32_e32 v231, 0x3f5db3d7, v27
	v_add_f32_e32 v27, v232, v223
	v_fmac_f32_e32 v232, -0.5, v29
	v_sub_f32_e32 v30, v222, v224
	v_mov_b32_e32 v29, v232
	v_add_f32_e32 v26, v26, v224
	v_add_f32_e32 v27, v27, v225
	v_fmac_f32_e32 v29, 0x3f5db3d7, v30
	v_fmac_f32_e32 v232, 0xbf5db3d7, v30
	s_waitcnt vmcnt(0)
	ds_write2_b64 v0, v[26:27], v[28:29] offset1:3
	ds_write_b64 v0, v[231:232] offset:48
	buffer_load_dword v0, off, s[20:23], 0 offset:288 ; 4-byte Folded Reload
	v_add_f32_e32 v31, v226, v228
	v_fma_f32 v32, -0.5, v31, v241
	v_sub_f32_e32 v31, v227, v233
	v_mov_b32_e32 v34, v32
	v_add_f32_e32 v30, v241, v226
	v_fmac_f32_e32 v34, 0xbf5db3d7, v31
	v_fmac_f32_e32 v32, 0x3f5db3d7, v31
	v_add_f32_e32 v31, v242, v227
	v_add_f32_e32 v30, v30, v228
	;; [unrolled: 1-line block ×3, first 2 shown]
	s_waitcnt vmcnt(0)
	ds_write2_b64 v0, v[30:31], v[34:35] offset1:3
	ds_write_b64 v0, v[32:33] offset:48
	buffer_load_dword v0, off, s[20:23], 0 offset:292 ; 4-byte Folded Reload
	v_add_f32_e32 v144, v144, v236
	v_add_f32_e32 v145, v145, v237
	s_waitcnt vmcnt(0)
	ds_write2_b64 v0, v[144:145], v[148:149] offset1:3
	ds_write_b64 v0, v[243:244] offset:48
	buffer_load_dword v0, off, s[20:23], 0 offset:296 ; 4-byte Folded Reload
	v_add_f32_e32 v150, v150, v240
	v_add_f32_e32 v151, v151, v245
	s_waitcnt vmcnt(0)
	ds_write2_b64 v0, v[150:151], v[194:195] offset1:3
	ds_write_b64 v0, v[192:193] offset:48
	s_waitcnt lgkmcnt(0)
	; wave barrier
	s_waitcnt lgkmcnt(0)
	ds_read2_b64 v[0:3], v255 offset1:63
	ds_read2_b64 v[4:7], v213 offset0:120 offset1:183
	ds_read2_b64 v[8:11], v211 offset0:110 offset1:173
	;; [unrolled: 1-line block ×12, first 2 shown]
	ds_read_b64 v[148:149], v255 offset:13104
	s_waitcnt lgkmcnt(12)
	v_mul_f32_e32 v150, v41, v7
	v_fmac_f32_e32 v150, v40, v6
	v_mul_f32_e32 v6, v41, v6
	v_fma_f32 v40, v40, v7, -v6
	s_waitcnt lgkmcnt(11)
	v_mul_f32_e32 v6, v43, v8
	v_mul_f32_e32 v41, v43, v9
	v_fma_f32 v9, v42, v9, -v6
	s_waitcnt lgkmcnt(10)
	v_mul_f32_e32 v6, v37, v12
	v_fmac_f32_e32 v41, v42, v8
	v_mul_f32_e32 v42, v37, v13
	v_fma_f32 v13, v36, v13, -v6
	v_mul_f32_e32 v6, v39, v10
	v_fma_f32 v37, v38, v11, -v6
	v_mul_f32_e32 v6, v49, v14
	v_fmac_f32_e32 v42, v36, v12
	v_mul_f32_e32 v36, v39, v11
	v_fma_f32 v39, v48, v15, -v6
	s_waitcnt lgkmcnt(8)
	v_mul_f32_e32 v6, v51, v20
	v_fmac_f32_e32 v36, v38, v10
	v_mul_f32_e32 v38, v49, v15
	v_mul_f32_e32 v43, v51, v21
	v_fma_f32 v21, v50, v21, -v6
	s_waitcnt lgkmcnt(7)
	v_mul_f32_e32 v6, v45, v24
	v_fmac_f32_e32 v38, v48, v14
	v_mul_f32_e32 v48, v45, v25
	v_fma_f32 v25, v44, v25, -v6
	v_mul_f32_e32 v6, v47, v22
	v_fma_f32 v45, v46, v23, -v6
	v_mul_f32_e32 v6, v53, v26
	v_fmac_f32_e32 v48, v44, v24
	v_mul_f32_e32 v44, v47, v23
	v_fma_f32 v47, v52, v27, -v6
	s_waitcnt lgkmcnt(5)
	v_mul_f32_e32 v6, v55, v32
	v_mul_f32_e32 v49, v55, v33
	v_fma_f32 v33, v54, v33, -v6
	s_waitcnt lgkmcnt(4)
	v_mul_f32_e32 v6, v57, v144
	v_fma_f32 v51, v56, v145, -v6
	v_mul_f32_e32 v6, v59, v34
	v_fmac_f32_e32 v44, v46, v22
	v_mul_f32_e32 v46, v53, v27
	v_fma_f32 v53, v58, v35, -v6
	v_mul_f32_e32 v6, v61, v146
	v_fma_f32 v55, v60, v147, -v6
	s_waitcnt lgkmcnt(2)
	v_mul_f32_e32 v6, v63, v196
	v_fmac_f32_e32 v43, v50, v20
	v_mul_f32_e32 v50, v57, v145
	v_fma_f32 v57, v62, v197, -v6
	s_waitcnt lgkmcnt(1)
	v_mul_f32_e32 v6, v65, v200
	v_fmac_f32_e32 v46, v52, v26
	v_mul_f32_e32 v52, v59, v35
	v_fma_f32 v59, v64, v201, -v6
	v_mul_f32_e32 v6, v67, v198
	v_fmac_f32_e32 v49, v54, v32
	v_mul_f32_e32 v54, v61, v147
	v_fma_f32 v61, v66, v199, -v6
	;; [unrolled: 4-line block ×3, first 2 shown]
	s_waitcnt lgkmcnt(0)
	v_mul_f32_e32 v6, v71, v148
	v_add_f32_e32 v7, v150, v41
	v_fmac_f32_e32 v52, v58, v34
	v_mul_f32_e32 v58, v65, v201
	v_fma_f32 v65, v70, v149, -v6
	v_add_f32_e32 v6, v0, v150
	v_fma_f32 v0, -0.5, v7, v0
	v_sub_f32_e32 v7, v40, v9
	v_mov_b32_e32 v8, v0
	v_fmac_f32_e32 v8, 0xbf5db3d7, v7
	v_fmac_f32_e32 v0, 0x3f5db3d7, v7
	v_add_f32_e32 v7, v1, v40
	v_add_f32_e32 v7, v7, v9
	v_add_f32_e32 v9, v40, v9
	v_fma_f32 v1, -0.5, v9, v1
	v_sub_f32_e32 v10, v150, v41
	v_mov_b32_e32 v9, v1
	v_add_f32_e32 v11, v42, v36
	v_fmac_f32_e32 v9, 0x3f5db3d7, v10
	v_fmac_f32_e32 v1, 0xbf5db3d7, v10
	v_add_f32_e32 v10, v2, v42
	v_fma_f32 v2, -0.5, v11, v2
	v_sub_f32_e32 v11, v13, v37
	v_mov_b32_e32 v12, v2
	v_fmac_f32_e32 v12, 0xbf5db3d7, v11
	v_fmac_f32_e32 v2, 0x3f5db3d7, v11
	v_add_f32_e32 v11, v3, v13
	v_add_f32_e32 v13, v13, v37
	v_fmac_f32_e32 v3, -0.5, v13
	v_sub_f32_e32 v14, v42, v36
	v_mov_b32_e32 v13, v3
	v_add_f32_e32 v15, v38, v43
	v_fmac_f32_e32 v13, 0x3f5db3d7, v14
	v_fmac_f32_e32 v3, 0xbf5db3d7, v14
	v_add_f32_e32 v14, v16, v38
	v_fma_f32 v16, -0.5, v15, v16
	v_sub_f32_e32 v15, v39, v21
	v_mov_b32_e32 v20, v16
	v_fmac_f32_e32 v20, 0xbf5db3d7, v15
	v_fmac_f32_e32 v16, 0x3f5db3d7, v15
	v_add_f32_e32 v15, v17, v39
	v_add_f32_e32 v15, v15, v21
	;; [unrolled: 1-line block ×3, first 2 shown]
	v_fma_f32 v17, -0.5, v21, v17
	v_sub_f32_e32 v22, v38, v43
	v_mov_b32_e32 v21, v17
	v_add_f32_e32 v23, v48, v44
	v_fmac_f32_e32 v21, 0x3f5db3d7, v22
	v_fmac_f32_e32 v17, 0xbf5db3d7, v22
	v_add_f32_e32 v22, v18, v48
	v_fma_f32 v18, -0.5, v23, v18
	v_sub_f32_e32 v23, v25, v45
	v_mov_b32_e32 v24, v18
	v_fmac_f32_e32 v24, 0xbf5db3d7, v23
	v_fmac_f32_e32 v18, 0x3f5db3d7, v23
	v_add_f32_e32 v23, v19, v25
	v_add_f32_e32 v25, v25, v45
	v_fmac_f32_e32 v19, -0.5, v25
	v_sub_f32_e32 v26, v48, v44
	v_mov_b32_e32 v25, v19
	v_add_f32_e32 v27, v46, v49
	v_fmac_f32_e32 v54, v60, v146
	v_mul_f32_e32 v60, v67, v199
	v_add_f32_e32 v6, v6, v41
	v_fmac_f32_e32 v25, 0x3f5db3d7, v26
	v_fmac_f32_e32 v19, 0xbf5db3d7, v26
	v_add_f32_e32 v26, v28, v46
	v_fma_f32 v28, -0.5, v27, v28
	v_add_f32_e32 v41, v55, v57
	v_fmac_f32_e32 v56, v62, v196
	v_fmac_f32_e32 v58, v64, v200
	;; [unrolled: 1-line block ×3, first 2 shown]
	v_sub_f32_e32 v27, v47, v33
	v_mov_b32_e32 v32, v28
	v_fma_f32 v41, -0.5, v41, v193
	v_add_f32_e32 v14, v14, v43
	v_add_f32_e32 v22, v22, v44
	;; [unrolled: 1-line block ×3, first 2 shown]
	v_fmac_f32_e32 v32, 0xbf5db3d7, v27
	v_fmac_f32_e32 v28, 0x3f5db3d7, v27
	v_add_f32_e32 v27, v29, v47
	v_sub_f32_e32 v44, v54, v56
	v_mov_b32_e32 v43, v41
	v_add_f32_e32 v45, v58, v60
	v_add_f32_e32 v27, v27, v33
	;; [unrolled: 1-line block ×3, first 2 shown]
	v_fmac_f32_e32 v43, 0x3f5db3d7, v44
	v_fmac_f32_e32 v41, 0xbf5db3d7, v44
	v_add_f32_e32 v44, v194, v58
	v_fma_f32 v194, -0.5, v45, v194
	v_mul_f32_e32 v62, v69, v203
	v_mul_f32_e32 v64, v71, v149
	v_fma_f32 v29, -0.5, v33, v29
	v_sub_f32_e32 v34, v46, v49
	v_sub_f32_e32 v45, v59, v61
	v_mov_b32_e32 v46, v194
	v_add_f32_e32 v47, v59, v61
	v_fmac_f32_e32 v62, v68, v202
	v_fmac_f32_e32 v64, v70, v148
	v_mov_b32_e32 v33, v29
	v_add_f32_e32 v35, v50, v52
	v_fmac_f32_e32 v46, 0xbf5db3d7, v45
	v_fmac_f32_e32 v194, 0x3f5db3d7, v45
	v_add_f32_e32 v45, v195, v59
	v_fmac_f32_e32 v195, -0.5, v47
	v_add_f32_e32 v26, v26, v49
	v_fmac_f32_e32 v33, 0x3f5db3d7, v34
	v_fmac_f32_e32 v29, 0xbf5db3d7, v34
	v_add_f32_e32 v34, v30, v50
	v_fma_f32 v30, -0.5, v35, v30
	v_sub_f32_e32 v48, v58, v60
	v_mov_b32_e32 v47, v195
	v_add_f32_e32 v49, v62, v64
	v_add_f32_e32 v10, v10, v36
	v_sub_f32_e32 v35, v51, v53
	v_mov_b32_e32 v36, v30
	v_fmac_f32_e32 v47, 0x3f5db3d7, v48
	v_fmac_f32_e32 v195, 0xbf5db3d7, v48
	v_add_f32_e32 v48, v4, v62
	v_fma_f32 v4, -0.5, v49, v4
	v_add_f32_e32 v11, v11, v37
	v_fmac_f32_e32 v36, 0xbf5db3d7, v35
	v_fmac_f32_e32 v30, 0x3f5db3d7, v35
	v_add_f32_e32 v35, v31, v51
	v_add_f32_e32 v37, v51, v53
	v_sub_f32_e32 v38, v50, v52
	v_sub_f32_e32 v49, v63, v65
	v_mov_b32_e32 v50, v4
	v_add_f32_e32 v51, v63, v65
	v_fmac_f32_e32 v50, 0xbf5db3d7, v49
	v_fmac_f32_e32 v4, 0x3f5db3d7, v49
	v_add_f32_e32 v49, v5, v63
	v_fmac_f32_e32 v5, -0.5, v51
	v_add_f32_e32 v34, v34, v52
	v_sub_f32_e32 v52, v62, v64
	v_mov_b32_e32 v51, v5
	v_fmac_f32_e32 v51, 0x3f5db3d7, v52
	v_fmac_f32_e32 v5, 0xbf5db3d7, v52
	s_waitcnt lgkmcnt(0)
	; wave barrier
	buffer_load_dword v52, off, s[20:23], 0 offset:308 ; 4-byte Folded Reload
	s_waitcnt vmcnt(0)
	ds_write2_b64 v52, v[6:7], v[8:9] offset1:9
	ds_write_b64 v52, v[0:1] offset:144
	buffer_load_dword v0, off, s[20:23], 0 offset:312 ; 4-byte Folded Reload
	s_waitcnt vmcnt(0)
	ds_write2_b64 v0, v[10:11], v[12:13] offset1:9
	ds_write_b64 v0, v[2:3] offset:144
	;; [unrolled: 4-line block ×5, first 2 shown]
	buffer_load_dword v0, off, s[20:23], 0 offset:328 ; 4-byte Folded Reload
	v_fmac_f32_e32 v31, -0.5, v37
	v_mov_b32_e32 v37, v31
	v_add_f32_e32 v35, v35, v53
	v_fmac_f32_e32 v37, 0x3f5db3d7, v38
	v_fmac_f32_e32 v31, 0xbf5db3d7, v38
	s_waitcnt vmcnt(0)
	ds_write2_b64 v0, v[34:35], v[36:37] offset1:9
	ds_write_b64 v0, v[30:31] offset:144
	buffer_load_dword v0, off, s[20:23], 0 offset:332 ; 4-byte Folded Reload
	v_add_f32_e32 v39, v54, v56
	v_fma_f32 v40, -0.5, v39, v192
	v_sub_f32_e32 v39, v55, v57
	v_mov_b32_e32 v42, v40
	v_add_f32_e32 v38, v192, v54
	v_fmac_f32_e32 v42, 0xbf5db3d7, v39
	v_fmac_f32_e32 v40, 0x3f5db3d7, v39
	v_add_f32_e32 v39, v193, v55
	v_add_f32_e32 v38, v38, v56
	;; [unrolled: 1-line block ×3, first 2 shown]
	s_waitcnt vmcnt(0)
	ds_write2_b64 v0, v[38:39], v[42:43] offset1:9
	ds_write_b64 v0, v[40:41] offset:144
	buffer_load_dword v0, off, s[20:23], 0 offset:336 ; 4-byte Folded Reload
	v_add_f32_e32 v44, v44, v60
	v_add_f32_e32 v45, v45, v61
	s_waitcnt vmcnt(0)
	ds_write2_b64 v0, v[44:45], v[46:47] offset1:9
	ds_write_b64 v0, v[194:195] offset:144
	buffer_load_dword v0, off, s[20:23], 0 offset:340 ; 4-byte Folded Reload
	v_add_f32_e32 v48, v48, v64
	v_add_f32_e32 v49, v49, v65
	s_waitcnt vmcnt(0)
	ds_write2_b64 v0, v[48:49], v[50:51] offset1:9
	ds_write_b64 v0, v[4:5] offset:144
	s_waitcnt lgkmcnt(0)
	; wave barrier
	s_waitcnt lgkmcnt(0)
	ds_read2_b64 v[0:3], v255 offset1:63
	ds_read2_b64 v[4:7], v213 offset0:120 offset1:183
	ds_read2_b64 v[8:11], v211 offset0:110 offset1:173
	ds_read2_b64 v[12:15], v212 offset0:118 offset1:181
	ds_read2_b64 v[16:19], v255 offset0:126 offset1:189
	ds_read2_b64 v[20:23], v214 offset0:108 offset1:171
	ds_read2_b64 v[24:27], v218 offset0:116 offset1:179
	ds_read2_b64 v[28:31], v219 offset0:124 offset1:187
	ds_read2_b64 v[32:35], v215 offset0:106 offset1:169
	ds_read2_b64 v[36:39], v216 offset0:114 offset1:177
	ds_read2_b64 v[40:43], v210 offset0:122 offset1:185
	ds_read2_b64 v[44:47], v220 offset0:104 offset1:167
	ds_read2_b64 v[48:51], v217 offset0:112 offset1:175
	ds_read_b64 v[52:53], v255 offset:13104
	s_waitcnt lgkmcnt(12)
	v_mul_f32_e32 v54, v77, v7
	v_fmac_f32_e32 v54, v76, v6
	v_mul_f32_e32 v6, v77, v6
	v_fma_f32 v55, v76, v7, -v6
	s_waitcnt lgkmcnt(11)
	v_mul_f32_e32 v6, v79, v8
	v_mul_f32_e32 v56, v79, v9
	v_fma_f32 v9, v78, v9, -v6
	s_waitcnt lgkmcnt(10)
	v_mul_f32_e32 v6, v73, v12
	v_mul_f32_e32 v57, v73, v13
	v_fma_f32 v13, v72, v13, -v6
	v_mul_f32_e32 v6, v75, v10
	v_fma_f32 v59, v74, v11, -v6
	v_mul_f32_e32 v6, v85, v14
	v_fma_f32 v61, v84, v15, -v6
	s_waitcnt lgkmcnt(8)
	v_mul_f32_e32 v6, v87, v20
	v_mul_f32_e32 v62, v87, v21
	v_fma_f32 v21, v86, v21, -v6
	s_waitcnt lgkmcnt(7)
	v_mul_f32_e32 v6, v81, v24
	v_mul_f32_e32 v63, v81, v25
	v_fma_f32 v25, v80, v25, -v6
	v_mul_f32_e32 v6, v83, v22
	v_fma_f32 v65, v82, v23, -v6
	v_mul_f32_e32 v6, v89, v26
	v_fma_f32 v67, v88, v27, -v6
	s_waitcnt lgkmcnt(5)
	v_mul_f32_e32 v6, v91, v32
	v_mul_f32_e32 v68, v91, v33
	v_fma_f32 v33, v90, v33, -v6
	s_waitcnt lgkmcnt(4)
	v_mul_f32_e32 v6, v93, v36
	v_mul_f32_e32 v69, v93, v37
	v_fma_f32 v37, v92, v37, -v6
	v_mul_f32_e32 v6, v95, v34
	v_fma_f32 v71, v94, v35, -v6
	v_mul_f32_e32 v6, v97, v38
	v_mul_f32_e32 v58, v75, v11
	v_fma_f32 v73, v96, v39, -v6
	s_waitcnt lgkmcnt(2)
	v_mul_f32_e32 v6, v99, v44
	v_fmac_f32_e32 v58, v74, v10
	v_mul_f32_e32 v74, v99, v45
	v_fma_f32 v45, v98, v45, -v6
	s_waitcnt lgkmcnt(1)
	v_mul_f32_e32 v6, v101, v48
	v_mul_f32_e32 v75, v101, v49
	v_fma_f32 v49, v100, v49, -v6
	v_mul_f32_e32 v6, v103, v46
	v_fmac_f32_e32 v56, v78, v8
	v_fma_f32 v77, v102, v47, -v6
	v_mul_f32_e32 v6, v105, v50
	v_fma_f32 v79, v104, v51, -v6
	s_waitcnt lgkmcnt(0)
	v_mul_f32_e32 v6, v107, v52
	v_add_f32_e32 v7, v54, v56
	v_fmac_f32_e32 v63, v80, v24
	v_mul_f32_e32 v80, v107, v53
	v_fma_f32 v53, v106, v53, -v6
	v_add_f32_e32 v6, v0, v54
	v_fma_f32 v0, -0.5, v7, v0
	v_sub_f32_e32 v7, v55, v9
	v_mov_b32_e32 v8, v0
	v_fmac_f32_e32 v8, 0xbf5db3d7, v7
	v_fmac_f32_e32 v0, 0x3f5db3d7, v7
	v_add_f32_e32 v7, v1, v55
	v_add_f32_e32 v7, v7, v9
	;; [unrolled: 1-line block ×3, first 2 shown]
	v_fmac_f32_e32 v57, v72, v12
	v_fma_f32 v1, -0.5, v9, v1
	v_sub_f32_e32 v10, v54, v56
	v_mov_b32_e32 v9, v1
	v_add_f32_e32 v11, v57, v58
	v_fmac_f32_e32 v9, 0x3f5db3d7, v10
	v_fmac_f32_e32 v1, 0xbf5db3d7, v10
	v_add_f32_e32 v10, v2, v57
	v_fma_f32 v2, -0.5, v11, v2
	v_sub_f32_e32 v11, v13, v59
	v_mov_b32_e32 v12, v2
	v_mul_f32_e32 v60, v85, v15
	v_fmac_f32_e32 v12, 0xbf5db3d7, v11
	v_fmac_f32_e32 v2, 0x3f5db3d7, v11
	v_add_f32_e32 v11, v3, v13
	v_add_f32_e32 v13, v13, v59
	v_fmac_f32_e32 v60, v84, v14
	v_fmac_f32_e32 v62, v86, v20
	v_fmac_f32_e32 v3, -0.5, v13
	v_sub_f32_e32 v14, v57, v58
	v_mov_b32_e32 v13, v3
	v_add_f32_e32 v15, v60, v62
	v_fmac_f32_e32 v13, 0x3f5db3d7, v14
	v_fmac_f32_e32 v3, 0xbf5db3d7, v14
	v_add_f32_e32 v14, v16, v60
	v_fma_f32 v16, -0.5, v15, v16
	v_sub_f32_e32 v15, v61, v21
	v_mov_b32_e32 v20, v16
	v_fmac_f32_e32 v20, 0xbf5db3d7, v15
	v_fmac_f32_e32 v16, 0x3f5db3d7, v15
	v_add_f32_e32 v15, v17, v61
	v_mul_f32_e32 v64, v83, v23
	v_add_f32_e32 v15, v15, v21
	v_add_f32_e32 v21, v61, v21
	v_fmac_f32_e32 v64, v82, v22
	v_fma_f32 v17, -0.5, v21, v17
	v_sub_f32_e32 v22, v60, v62
	v_mov_b32_e32 v21, v17
	v_add_f32_e32 v23, v63, v64
	v_fmac_f32_e32 v21, 0x3f5db3d7, v22
	v_fmac_f32_e32 v17, 0xbf5db3d7, v22
	v_add_f32_e32 v22, v18, v63
	v_fma_f32 v18, -0.5, v23, v18
	v_sub_f32_e32 v23, v25, v65
	v_mov_b32_e32 v24, v18
	v_mul_f32_e32 v66, v89, v27
	v_fmac_f32_e32 v24, 0xbf5db3d7, v23
	v_fmac_f32_e32 v18, 0x3f5db3d7, v23
	v_add_f32_e32 v23, v19, v25
	v_add_f32_e32 v25, v25, v65
	v_fmac_f32_e32 v66, v88, v26
	v_fmac_f32_e32 v68, v90, v32
	v_fmac_f32_e32 v19, -0.5, v25
	v_sub_f32_e32 v26, v63, v64
	v_mov_b32_e32 v25, v19
	v_add_f32_e32 v27, v66, v68
	v_fmac_f32_e32 v25, 0x3f5db3d7, v26
	v_fmac_f32_e32 v19, 0xbf5db3d7, v26
	v_add_f32_e32 v26, v28, v66
	v_fma_f32 v28, -0.5, v27, v28
	v_sub_f32_e32 v27, v67, v33
	v_mov_b32_e32 v32, v28
	v_fmac_f32_e32 v32, 0xbf5db3d7, v27
	v_fmac_f32_e32 v28, 0x3f5db3d7, v27
	v_add_f32_e32 v27, v29, v67
	v_mul_f32_e32 v70, v95, v35
	v_add_f32_e32 v27, v27, v33
	v_add_f32_e32 v33, v67, v33
	v_fmac_f32_e32 v69, v92, v36
	v_fmac_f32_e32 v70, v94, v34
	v_fma_f32 v29, -0.5, v33, v29
	v_sub_f32_e32 v34, v66, v68
	v_mov_b32_e32 v33, v29
	v_add_f32_e32 v35, v69, v70
	v_fmac_f32_e32 v33, 0x3f5db3d7, v34
	v_fmac_f32_e32 v29, 0xbf5db3d7, v34
	v_add_f32_e32 v34, v30, v69
	v_fma_f32 v30, -0.5, v35, v30
	v_sub_f32_e32 v35, v37, v71
	v_mov_b32_e32 v36, v30
	v_mul_f32_e32 v72, v97, v39
	v_fmac_f32_e32 v36, 0xbf5db3d7, v35
	v_fmac_f32_e32 v30, 0x3f5db3d7, v35
	v_add_f32_e32 v35, v31, v37
	v_add_f32_e32 v37, v37, v71
	v_fmac_f32_e32 v72, v96, v38
	v_fmac_f32_e32 v74, v98, v44
	v_fmac_f32_e32 v31, -0.5, v37
	v_sub_f32_e32 v38, v69, v70
	v_mov_b32_e32 v37, v31
	v_add_f32_e32 v39, v72, v74
	v_fmac_f32_e32 v37, 0x3f5db3d7, v38
	v_fmac_f32_e32 v31, 0xbf5db3d7, v38
	v_add_f32_e32 v38, v40, v72
	v_fma_f32 v40, -0.5, v39, v40
	v_sub_f32_e32 v39, v73, v45
	v_mov_b32_e32 v44, v40
	v_fmac_f32_e32 v44, 0xbf5db3d7, v39
	v_fmac_f32_e32 v40, 0x3f5db3d7, v39
	v_add_f32_e32 v39, v41, v73
	v_mul_f32_e32 v76, v103, v47
	v_add_f32_e32 v39, v39, v45
	v_add_f32_e32 v45, v73, v45
	v_fmac_f32_e32 v75, v100, v48
	v_fmac_f32_e32 v76, v102, v46
	v_fma_f32 v41, -0.5, v45, v41
	v_sub_f32_e32 v46, v72, v74
	v_mov_b32_e32 v45, v41
	v_add_f32_e32 v47, v75, v76
	v_fmac_f32_e32 v45, 0x3f5db3d7, v46
	v_fmac_f32_e32 v41, 0xbf5db3d7, v46
	v_add_f32_e32 v46, v42, v75
	v_fma_f32 v42, -0.5, v47, v42
	v_sub_f32_e32 v47, v49, v77
	v_mov_b32_e32 v48, v42
	v_mul_f32_e32 v78, v105, v51
	v_fmac_f32_e32 v48, 0xbf5db3d7, v47
	v_fmac_f32_e32 v42, 0x3f5db3d7, v47
	v_add_f32_e32 v47, v43, v49
	v_add_f32_e32 v49, v49, v77
	v_fmac_f32_e32 v78, v104, v50
	v_fmac_f32_e32 v80, v106, v52
	v_fmac_f32_e32 v43, -0.5, v49
	v_sub_f32_e32 v50, v75, v76
	v_mov_b32_e32 v49, v43
	v_add_f32_e32 v51, v78, v80
	v_fmac_f32_e32 v49, 0x3f5db3d7, v50
	v_fmac_f32_e32 v43, 0xbf5db3d7, v50
	v_add_f32_e32 v50, v4, v78
	v_fma_f32 v4, -0.5, v51, v4
	v_sub_f32_e32 v51, v79, v53
	v_mov_b32_e32 v52, v4
	v_fmac_f32_e32 v52, 0xbf5db3d7, v51
	v_fmac_f32_e32 v4, 0x3f5db3d7, v51
	v_add_f32_e32 v51, v5, v79
	v_add_f32_e32 v51, v51, v53
	;; [unrolled: 1-line block ×3, first 2 shown]
	v_fmac_f32_e32 v5, -0.5, v53
	v_sub_f32_e32 v54, v78, v80
	v_mov_b32_e32 v53, v5
	v_fmac_f32_e32 v53, 0x3f5db3d7, v54
	v_fmac_f32_e32 v5, 0xbf5db3d7, v54
	s_waitcnt lgkmcnt(0)
	; wave barrier
	buffer_load_dword v54, off, s[20:23], 0 offset:344 ; 4-byte Folded Reload
	v_add_f32_e32 v6, v6, v56
	s_waitcnt vmcnt(0)
	ds_write2_b64 v54, v[6:7], v[8:9] offset1:27
	ds_write_b64 v54, v[0:1] offset:432
	buffer_load_dword v0, off, s[20:23], 0 offset:348 ; 4-byte Folded Reload
	v_add_f32_e32 v10, v10, v58
	v_add_f32_e32 v11, v11, v59
	s_waitcnt vmcnt(0)
	ds_write2_b64 v0, v[10:11], v[12:13] offset1:27
	ds_write_b64 v0, v[2:3] offset:432
	buffer_load_dword v0, off, s[20:23], 0 offset:352 ; 4-byte Folded Reload
	v_add_f32_e32 v14, v14, v62
	s_waitcnt vmcnt(0)
	ds_write2_b64 v0, v[14:15], v[20:21] offset1:27
	ds_write_b64 v0, v[16:17] offset:432
	buffer_load_dword v0, off, s[20:23], 0 offset:356 ; 4-byte Folded Reload
	v_add_f32_e32 v22, v22, v64
	v_add_f32_e32 v23, v23, v65
	s_waitcnt vmcnt(0)
	ds_write2_b64 v0, v[22:23], v[24:25] offset1:27
	ds_write_b64 v0, v[18:19] offset:432
	;; [unrolled: 11-line block ×4, first 2 shown]
	buffer_load_dword v0, off, s[20:23], 0 offset:376 ; 4-byte Folded Reload
	v_add_f32_e32 v50, v50, v80
	s_waitcnt vmcnt(0)
	ds_write2_b64 v0, v[50:51], v[52:53] offset1:27
	ds_write_b64 v0, v[4:5] offset:432
	s_waitcnt lgkmcnt(0)
	; wave barrier
	s_waitcnt lgkmcnt(0)
	ds_read2_b64 v[10:13], v255 offset1:63
	ds_read2_b64 v[0:3], v213 offset0:120 offset1:183
	ds_read2_b64 v[14:17], v211 offset0:110 offset1:173
	;; [unrolled: 1-line block ×12, first 2 shown]
	ds_read_b64 v[8:9], v255 offset:13104
	s_waitcnt lgkmcnt(12)
	v_mul_f32_e32 v54, v109, v3
	v_fmac_f32_e32 v54, v108, v2
	v_mul_f32_e32 v2, v109, v2
	v_fma_f32 v2, v108, v3, -v2
	s_waitcnt lgkmcnt(11)
	v_mul_f32_e32 v3, v111, v15
	v_fmac_f32_e32 v3, v110, v14
	v_mul_f32_e32 v14, v111, v14
	v_fma_f32 v55, v110, v15, -v14
	s_waitcnt lgkmcnt(10)
	v_mul_f32_e32 v14, v113, v18
	v_fma_f32 v57, v112, v19, -v14
	v_mul_f32_e32 v14, v115, v16
	v_fma_f32 v59, v114, v17, -v14
	v_mul_f32_e32 v14, v121, v20
	v_fma_f32 v61, v120, v21, -v14
	s_waitcnt lgkmcnt(8)
	v_mul_f32_e32 v14, v123, v26
	v_fma_f32 v63, v122, v27, -v14
	s_waitcnt lgkmcnt(7)
	v_mul_f32_e32 v14, v117, v30
	v_fma_f32 v65, v116, v31, -v14
	v_mul_f32_e32 v14, v119, v28
	v_fma_f32 v67, v118, v29, -v14
	v_mul_f32_e32 v14, v129, v32
	v_fma_f32 v69, v128, v33, -v14
	s_waitcnt lgkmcnt(5)
	;; [unrolled: 10-line block ×3, first 2 shown]
	v_mul_f32_e32 v14, v143, v46
	v_fma_f32 v79, v142, v47, -v14
	s_waitcnt lgkmcnt(1)
	v_mul_f32_e32 v14, v137, v50
	s_waitcnt lgkmcnt(0)
	v_mul_f32_e32 v86, v135, v9
	v_fma_f32 v81, v136, v51, -v14
	v_mul_f32_e32 v14, v139, v48
	v_fmac_f32_e32 v86, v134, v8
	v_mul_f32_e32 v8, v135, v8
	v_fma_f32 v83, v138, v49, -v14
	v_mul_f32_e32 v14, v133, v52
	v_fma_f32 v87, v134, v9, -v8
	v_add_f32_e32 v8, v10, v54
	v_mul_f32_e32 v58, v115, v17
	v_fma_f32 v85, v132, v53, -v14
	v_add_f32_e32 v14, v8, v3
	v_add_f32_e32 v8, v54, v3
	v_mul_f32_e32 v56, v113, v19
	v_fmac_f32_e32 v58, v114, v16
	v_fma_f32 v16, -0.5, v8, v10
	v_fmac_f32_e32 v56, v112, v18
	v_sub_f32_e32 v8, v2, v55
	v_mov_b32_e32 v18, v16
	v_fmac_f32_e32 v18, 0xbf5db3d7, v8
	v_fmac_f32_e32 v16, 0x3f5db3d7, v8
	v_add_f32_e32 v8, v11, v2
	v_add_f32_e32 v2, v2, v55
	v_fma_f32 v17, -0.5, v2, v11
	v_sub_f32_e32 v2, v54, v3
	v_mov_b32_e32 v19, v17
	v_add_f32_e32 v15, v8, v55
	v_fmac_f32_e32 v19, 0x3f5db3d7, v2
	v_fmac_f32_e32 v17, 0xbf5db3d7, v2
	s_waitcnt lgkmcnt(0)
	; wave barrier
	ds_write2_b64 v255, v[14:15], v[18:19] offset1:81
	ds_write_b64 v255, v[16:17] offset:1296
	buffer_load_dword v14, off, s[20:23], 0 offset:380 ; 4-byte Folded Reload
	v_mul_f32_e32 v60, v121, v21
	v_add_f32_e32 v2, v12, v56
	v_fmac_f32_e32 v60, v120, v20
	v_add_f32_e32 v20, v2, v58
	v_add_f32_e32 v2, v56, v58
	v_mul_f32_e32 v62, v123, v27
	v_fma_f32 v12, -0.5, v2, v12
	v_fmac_f32_e32 v62, v122, v26
	v_sub_f32_e32 v2, v57, v59
	v_mov_b32_e32 v26, v12
	v_fmac_f32_e32 v26, 0xbf5db3d7, v2
	v_fmac_f32_e32 v12, 0x3f5db3d7, v2
	v_add_f32_e32 v2, v13, v57
	v_add_f32_e32 v21, v2, v59
	;; [unrolled: 1-line block ×3, first 2 shown]
	v_fmac_f32_e32 v13, -0.5, v2
	v_sub_f32_e32 v2, v56, v58
	v_mov_b32_e32 v27, v13
	v_fmac_f32_e32 v27, 0x3f5db3d7, v2
	v_fmac_f32_e32 v13, 0xbf5db3d7, v2
	s_waitcnt vmcnt(0)
	ds_write2_b64 v14, v[20:21], v[26:27] offset1:81
	ds_write_b64 v14, v[12:13] offset:1296
	buffer_load_dword v12, off, s[20:23], 0 offset:384 ; 4-byte Folded Reload
	v_mul_f32_e32 v66, v119, v29
	v_add_f32_e32 v2, v22, v60
	v_fmac_f32_e32 v66, v118, v28
	v_add_f32_e32 v28, v2, v62
	v_add_f32_e32 v2, v60, v62
	v_mul_f32_e32 v64, v117, v31
	v_fma_f32 v22, -0.5, v2, v22
	v_fmac_f32_e32 v64, v116, v30
	v_sub_f32_e32 v2, v61, v63
	v_mov_b32_e32 v30, v22
	v_fmac_f32_e32 v30, 0xbf5db3d7, v2
	v_fmac_f32_e32 v22, 0x3f5db3d7, v2
	v_add_f32_e32 v2, v23, v61
	v_add_f32_e32 v29, v2, v63
	;; [unrolled: 1-line block ×3, first 2 shown]
	v_fma_f32 v23, -0.5, v2, v23
	v_sub_f32_e32 v2, v60, v62
	v_mov_b32_e32 v31, v23
	v_fmac_f32_e32 v31, 0x3f5db3d7, v2
	v_fmac_f32_e32 v23, 0xbf5db3d7, v2
	s_waitcnt vmcnt(0)
	ds_write2_b64 v12, v[28:29], v[30:31] offset1:81
	ds_write_b64 v12, v[22:23] offset:1296
	buffer_load_dword v12, off, s[20:23], 0 offset:420 ; 4-byte Folded Reload
	v_mul_f32_e32 v68, v129, v33
	v_add_f32_e32 v2, v24, v64
	v_fmac_f32_e32 v68, v128, v32
	v_add_f32_e32 v32, v2, v66
	v_add_f32_e32 v2, v64, v66
	v_mul_f32_e32 v70, v131, v39
	v_fma_f32 v24, -0.5, v2, v24
	v_fmac_f32_e32 v70, v130, v38
	v_sub_f32_e32 v2, v65, v67
	v_mov_b32_e32 v38, v24
	v_fmac_f32_e32 v38, 0xbf5db3d7, v2
	v_fmac_f32_e32 v24, 0x3f5db3d7, v2
	v_add_f32_e32 v2, v25, v65
	v_add_f32_e32 v33, v2, v67
	;; [unrolled: 1-line block ×3, first 2 shown]
	v_fmac_f32_e32 v25, -0.5, v2
	v_sub_f32_e32 v2, v64, v66
	v_mov_b32_e32 v39, v25
	v_fmac_f32_e32 v39, 0x3f5db3d7, v2
	v_fmac_f32_e32 v25, 0xbf5db3d7, v2
	s_waitcnt vmcnt(0)
	ds_write2_b64 v12, v[32:33], v[38:39] offset1:81
	ds_write_b64 v12, v[24:25] offset:1296
	buffer_load_dword v13, off, s[20:23], 0 offset:424 ; 4-byte Folded Reload
	v_mul_f32_e32 v74, v127, v41
	v_add_f32_e32 v2, v34, v68
	v_fmac_f32_e32 v74, v126, v40
	v_add_f32_e32 v40, v2, v70
	v_add_f32_e32 v2, v68, v70
	v_mul_f32_e32 v72, v125, v43
	v_fma_f32 v34, -0.5, v2, v34
	v_fmac_f32_e32 v72, v124, v42
	v_sub_f32_e32 v2, v69, v71
	v_mov_b32_e32 v42, v34
	v_fmac_f32_e32 v42, 0xbf5db3d7, v2
	v_fmac_f32_e32 v34, 0x3f5db3d7, v2
	v_add_f32_e32 v2, v35, v69
	v_add_f32_e32 v41, v2, v71
	;; [unrolled: 1-line block ×3, first 2 shown]
	v_fma_f32 v35, -0.5, v2, v35
	v_sub_f32_e32 v2, v68, v70
	v_mov_b32_e32 v43, v35
	v_fmac_f32_e32 v43, 0x3f5db3d7, v2
	v_fmac_f32_e32 v35, 0xbf5db3d7, v2
	v_mul_f32_e32 v76, v141, v45
	v_add_f32_e32 v2, v36, v72
	v_fmac_f32_e32 v76, v140, v44
	v_add_f32_e32 v44, v2, v74
	v_add_f32_e32 v2, v72, v74
	v_mul_f32_e32 v78, v143, v47
	v_fma_f32 v36, -0.5, v2, v36
	v_fmac_f32_e32 v78, v142, v46
	v_sub_f32_e32 v2, v73, v75
	v_mov_b32_e32 v46, v36
	v_fmac_f32_e32 v46, 0xbf5db3d7, v2
	v_fmac_f32_e32 v36, 0x3f5db3d7, v2
	v_add_f32_e32 v2, v37, v73
	v_add_f32_e32 v45, v2, v75
	;; [unrolled: 1-line block ×3, first 2 shown]
	v_fmac_f32_e32 v37, -0.5, v2
	v_sub_f32_e32 v2, v72, v74
	v_mov_b32_e32 v47, v37
	v_fmac_f32_e32 v47, 0x3f5db3d7, v2
	v_fmac_f32_e32 v37, 0xbf5db3d7, v2
	v_mul_f32_e32 v82, v139, v49
	v_add_f32_e32 v2, v4, v76
	v_mul_f32_e32 v80, v137, v51
	v_fmac_f32_e32 v82, v138, v48
	v_add_f32_e32 v48, v2, v78
	v_add_f32_e32 v2, v76, v78
	v_fmac_f32_e32 v80, v136, v50
	v_mul_f32_e32 v84, v133, v53
	v_fma_f32 v50, -0.5, v2, v4
	v_fmac_f32_e32 v84, v132, v52
	v_sub_f32_e32 v2, v77, v79
	v_mov_b32_e32 v52, v50
	v_fmac_f32_e32 v52, 0xbf5db3d7, v2
	v_fmac_f32_e32 v50, 0x3f5db3d7, v2
	v_add_f32_e32 v2, v5, v77
	v_add_f32_e32 v49, v2, v79
	v_add_f32_e32 v2, v77, v79
	v_fma_f32 v51, -0.5, v2, v5
	v_sub_f32_e32 v2, v76, v78
	v_mov_b32_e32 v53, v51
	v_fmac_f32_e32 v53, 0x3f5db3d7, v2
	v_fmac_f32_e32 v51, 0xbf5db3d7, v2
	v_add_f32_e32 v3, v80, v82
	v_add_f32_e32 v2, v6, v80
	v_fma_f32 v6, -0.5, v3, v6
	v_sub_f32_e32 v3, v81, v83
	v_mov_b32_e32 v4, v6
	v_add_f32_e32 v5, v81, v83
	v_fmac_f32_e32 v4, 0xbf5db3d7, v3
	v_fmac_f32_e32 v6, 0x3f5db3d7, v3
	v_add_f32_e32 v3, v7, v81
	v_fmac_f32_e32 v7, -0.5, v5
	v_sub_f32_e32 v8, v80, v82
	v_mov_b32_e32 v5, v7
	v_add_f32_e32 v2, v2, v82
	v_add_f32_e32 v3, v3, v83
	v_fmac_f32_e32 v5, 0x3f5db3d7, v8
	v_fmac_f32_e32 v7, 0xbf5db3d7, v8
	v_add_f32_e32 v9, v84, v86
	s_waitcnt vmcnt(0)
	v_add_u32_e32 v12, 0x1400, v13
	ds_write2_b64 v12, v[40:41], v[42:43] offset0:89 offset1:170
	ds_write_b64 v13, v[34:35] offset:7128
	buffer_load_dword v12, off, s[20:23], 0 offset:428 ; 4-byte Folded Reload
	s_waitcnt vmcnt(0)
	ds_write2_b64 v12, v[44:45], v[46:47] offset1:81
	ds_write_b64 v12, v[36:37] offset:1296
	buffer_load_dword v12, off, s[20:23], 0 offset:432 ; 4-byte Folded Reload
	s_waitcnt vmcnt(0)
	ds_write2_b64 v12, v[48:49], v[52:53] offset1:81
	;; [unrolled: 4-line block ×3, first 2 shown]
	ds_write_b64 v12, v[6:7] offset:1296
	buffer_load_dword v13, off, s[20:23], 0 offset:440 ; 4-byte Folded Reload
	v_add_f32_e32 v8, v0, v84
	v_fma_f32 v0, -0.5, v9, v0
	v_sub_f32_e32 v9, v85, v87
	v_mov_b32_e32 v10, v0
	v_add_f32_e32 v11, v85, v87
	v_fmac_f32_e32 v10, 0xbf5db3d7, v9
	v_fmac_f32_e32 v0, 0x3f5db3d7, v9
	v_add_f32_e32 v9, v1, v85
	v_fmac_f32_e32 v1, -0.5, v11
	v_sub_f32_e32 v54, v84, v86
	v_mov_b32_e32 v11, v1
	v_add_f32_e32 v8, v8, v86
	v_add_f32_e32 v9, v9, v87
	v_fmac_f32_e32 v11, 0x3f5db3d7, v54
	v_fmac_f32_e32 v1, 0xbf5db3d7, v54
	s_waitcnt vmcnt(0)
	v_add_u32_e32 v12, 0x2c00, v13
	ds_write2_b64 v12, v[8:9], v[10:11] offset0:50 offset1:131
	ds_write_b64 v13, v[0:1] offset:12960
	s_waitcnt lgkmcnt(0)
	; wave barrier
	s_waitcnt lgkmcnt(0)
	ds_read2_b64 v[18:21], v255 offset1:63
	ds_read2_b64 v[14:17], v255 offset0:126 offset1:243
	ds_read2_b64 v[50:53], v213 offset0:102 offset1:165
	;; [unrolled: 1-line block ×9, first 2 shown]
	ds_read_b64 v[54:55], v255 offset:12672
	s_and_saveexec_b64 s[2:3], s[0:1]
	s_cbranch_execz .LBB0_7
; %bb.6:
	v_add_u32_e32 v0, 0x5c0, v255
	v_add_u32_e32 v1, 0x1500, v255
	ds_read2_b64 v[10:13], v214 offset0:9 offset1:252
	ds_read2_b64 v[6:9], v1 offset0:3 offset1:246
	;; [unrolled: 1-line block ×3, first 2 shown]
	ds_read_b64 v[0:1], v255 offset:13176
	s_waitcnt lgkmcnt(0)
	buffer_store_dword v0, off, s[20:23], 0 ; 4-byte Folded Spill
	s_nop 0
	buffer_store_dword v1, off, s[20:23], 0 offset:4 ; 4-byte Folded Spill
	v_mov_b32_e32 v0, v12
	v_mov_b32_e32 v1, v13
.LBB0_7:
	s_or_b64 exec, exec, s[2:3]
	s_waitcnt lgkmcnt(9)
	v_mul_f32_e32 v12, v165, v17
	v_fmac_f32_e32 v12, v164, v16
	v_mul_f32_e32 v13, v165, v16
	s_waitcnt lgkmcnt(8)
	v_mul_f32_e32 v16, v167, v51
	v_fma_f32 v13, v164, v17, -v13
	v_fmac_f32_e32 v16, v166, v50
	v_mul_f32_e32 v17, v167, v50
	s_waitcnt lgkmcnt(7)
	v_mul_f32_e32 v50, v161, v29
	v_fmac_f32_e32 v50, v160, v28
	v_mul_f32_e32 v28, v161, v28
	v_fma_f32 v28, v160, v29, -v28
	s_waitcnt lgkmcnt(6)
	v_mul_f32_e32 v29, v163, v47
	v_fmac_f32_e32 v29, v162, v46
	v_mul_f32_e32 v46, v163, v46
	v_fma_f32 v46, v162, v47, -v46
	;; [unrolled: 5-line block ×5, first 2 shown]
	v_mul_f32_e32 v39, v179, v53
	v_fma_f32 v17, v166, v51, -v17
	v_fmac_f32_e32 v39, v178, v52
	v_mul_f32_e32 v51, v179, v52
	s_waitcnt lgkmcnt(2)
	v_mul_f32_e32 v52, v173, v35
	v_fmac_f32_e32 v52, v172, v34
	v_mul_f32_e32 v34, v173, v34
	v_fma_f32 v34, v172, v35, -v34
	v_mul_f32_e32 v35, v175, v49
	v_fmac_f32_e32 v35, v174, v48
	v_mul_f32_e32 v48, v175, v48
	v_fma_f32 v48, v174, v49, -v48
	s_waitcnt lgkmcnt(1)
	v_mul_f32_e32 v49, v169, v31
	v_mul_f32_e32 v60, v191, v23
	v_fmac_f32_e32 v49, v168, v30
	v_mul_f32_e32 v30, v169, v30
	v_fmac_f32_e32 v60, v190, v22
	v_mul_f32_e32 v22, v191, v22
	v_fma_f32 v30, v168, v31, -v30
	v_mul_f32_e32 v31, v171, v45
	v_mul_f32_e32 v56, v187, v27
	v_fma_f32 v61, v190, v23, -v22
	v_mul_f32_e32 v22, v181, v32
	v_fmac_f32_e32 v31, v170, v44
	v_mul_f32_e32 v44, v171, v44
	v_fmac_f32_e32 v56, v186, v26
	v_mul_f32_e32 v26, v187, v26
	v_fma_f32 v63, v180, v33, -v22
	s_waitcnt lgkmcnt(0)
	v_mul_f32_e32 v64, v183, v55
	v_mul_f32_e32 v22, v183, v54
	v_fma_f32 v44, v170, v45, -v44
	v_mul_f32_e32 v45, v185, v41
	v_fma_f32 v57, v186, v27, -v26
	v_mul_f32_e32 v26, v189, v36
	v_mul_f32_e32 v62, v181, v33
	v_fmac_f32_e32 v64, v182, v54
	v_fma_f32 v54, v182, v55, -v22
	v_add_f32_e32 v22, v12, v25
	v_sub_f32_e32 v12, v12, v25
	v_add_f32_e32 v25, v16, v47
	v_fmac_f32_e32 v45, v184, v40
	v_mul_f32_e32 v40, v185, v40
	v_mul_f32_e32 v58, v189, v37
	v_fma_f32 v59, v188, v37, -v26
	v_fmac_f32_e32 v62, v180, v32
	v_add_f32_e32 v23, v13, v42
	v_add_f32_e32 v26, v17, v24
	v_sub_f32_e32 v16, v16, v47
	v_sub_f32_e32 v17, v17, v24
	v_add_f32_e32 v24, v50, v29
	v_sub_f32_e32 v29, v29, v50
	v_add_f32_e32 v32, v25, v22
	v_fma_f32 v51, v178, v53, -v51
	v_fma_f32 v53, v184, v41, -v40
	v_fmac_f32_e32 v58, v188, v36
	v_add_f32_e32 v27, v28, v46
	v_sub_f32_e32 v28, v46, v28
	v_add_f32_e32 v33, v26, v23
	v_sub_f32_e32 v36, v25, v22
	v_sub_f32_e32 v22, v22, v24
	v_sub_f32_e32 v25, v24, v25
	v_add_f32_e32 v40, v29, v16
	v_add_f32_e32 v24, v24, v32
	v_sub_f32_e32 v13, v13, v42
	v_sub_f32_e32 v37, v26, v23
	v_sub_f32_e32 v23, v23, v27
	v_sub_f32_e32 v26, v27, v26
	v_add_f32_e32 v41, v28, v17
	v_sub_f32_e32 v42, v29, v16
	v_sub_f32_e32 v29, v12, v29
	;; [unrolled: 1-line block ×3, first 2 shown]
	v_add_f32_e32 v27, v27, v33
	v_add_f32_e32 v32, v40, v12
	v_add_f32_e32 v12, v18, v24
	v_sub_f32_e32 v46, v28, v17
	v_sub_f32_e32 v28, v13, v28
	;; [unrolled: 1-line block ×3, first 2 shown]
	v_add_f32_e32 v33, v41, v13
	v_add_f32_e32 v13, v19, v27
	v_mov_b32_e32 v47, v12
	v_mul_f32_e32 v18, 0x3f4a47b2, v22
	v_mul_f32_e32 v19, 0x3f4a47b2, v23
	;; [unrolled: 1-line block ×6, first 2 shown]
	s_mov_b32 s6, 0xbf5ff5aa
	v_mul_f32_e32 v46, 0xbf5ff5aa, v17
	v_fmac_f32_e32 v47, 0xbf955555, v24
	v_mov_b32_e32 v24, v13
	s_mov_b32 s12, 0xbf3bfb3b
	s_mov_b32 s13, 0x3eae86e6
	v_mul_f32_e32 v42, 0xbf5ff5aa, v16
	v_fmac_f32_e32 v24, 0xbf955555, v27
	v_fma_f32 v22, v36, s7, -v22
	v_fma_f32 v23, v37, s7, -v23
	;; [unrolled: 1-line block ×3, first 2 shown]
	v_fmac_f32_e32 v18, 0x3d64c772, v25
	v_fma_f32 v25, v37, s12, -v19
	v_fmac_f32_e32 v19, 0x3d64c772, v26
	v_fma_f32 v26, v16, s6, -v40
	v_fma_f32 v36, v17, s6, -v41
	v_fmac_f32_e32 v41, 0xbeae86e6, v28
	v_fma_f32 v28, v28, s13, -v46
	v_fmac_f32_e32 v40, 0xbeae86e6, v29
	v_fma_f32 v29, v29, s13, -v42
	v_add_f32_e32 v37, v18, v47
	v_add_f32_e32 v50, v23, v24
	;; [unrolled: 1-line block ×3, first 2 shown]
	v_fmac_f32_e32 v41, 0xbee1c552, v33
	v_fmac_f32_e32 v26, 0xbee1c552, v32
	;; [unrolled: 1-line block ×3, first 2 shown]
	v_add_f32_e32 v42, v19, v24
	v_add_f32_e32 v46, v22, v47
	;; [unrolled: 1-line block ×3, first 2 shown]
	v_fmac_f32_e32 v40, 0xbee1c552, v32
	v_fmac_f32_e32 v36, 0xbee1c552, v33
	;; [unrolled: 1-line block ×3, first 2 shown]
	v_add_f32_e32 v16, v41, v37
	v_add_f32_e32 v18, v28, v27
	;; [unrolled: 1-line block ×3, first 2 shown]
	v_sub_f32_e32 v25, v50, v26
	v_sub_f32_e32 v26, v27, v28
	;; [unrolled: 1-line block ×3, first 2 shown]
	v_add_f32_e32 v32, v43, v31
	v_add_f32_e32 v37, v39, v49
	v_sub_f32_e32 v17, v42, v40
	v_sub_f32_e32 v19, v47, v29
	v_sub_f32_e32 v22, v46, v36
	v_add_f32_e32 v24, v36, v46
	v_add_f32_e32 v27, v29, v47
	;; [unrolled: 1-line block ×4, first 2 shown]
	v_sub_f32_e32 v36, v38, v44
	v_add_f32_e32 v38, v51, v30
	v_add_f32_e32 v40, v52, v35
	;; [unrolled: 1-line block ×3, first 2 shown]
	v_sub_f32_e32 v31, v43, v31
	v_add_f32_e32 v41, v34, v48
	v_add_f32_e32 v43, v38, v33
	v_sub_f32_e32 v44, v37, v32
	v_sub_f32_e32 v32, v32, v40
	;; [unrolled: 1-line block ×3, first 2 shown]
	v_add_f32_e32 v40, v40, v42
	v_sub_f32_e32 v39, v39, v49
	v_sub_f32_e32 v30, v51, v30
	;; [unrolled: 1-line block ×7, first 2 shown]
	v_add_f32_e32 v41, v41, v43
	v_add_f32_e32 v20, v20, v40
	;; [unrolled: 1-line block ×4, first 2 shown]
	v_sub_f32_e32 v49, v35, v39
	v_sub_f32_e32 v50, v34, v30
	;; [unrolled: 1-line block ×3, first 2 shown]
	v_add_f32_e32 v21, v21, v41
	v_mov_b32_e32 v51, v20
	v_sub_f32_e32 v35, v31, v35
	v_sub_f32_e32 v34, v36, v34
	;; [unrolled: 1-line block ×3, first 2 shown]
	v_add_f32_e32 v31, v47, v31
	v_add_f32_e32 v36, v48, v36
	v_mul_f32_e32 v32, 0x3f4a47b2, v32
	v_mul_f32_e32 v33, 0x3f4a47b2, v33
	;; [unrolled: 1-line block ×7, first 2 shown]
	v_fmac_f32_e32 v51, 0xbf955555, v40
	v_mov_b32_e32 v40, v21
	v_mul_f32_e32 v49, 0xbf5ff5aa, v39
	v_fmac_f32_e32 v40, 0xbf955555, v41
	v_fma_f32 v41, v44, s7, -v42
	v_fma_f32 v42, v46, s7, -v43
	;; [unrolled: 1-line block ×3, first 2 shown]
	v_fmac_f32_e32 v32, 0x3d64c772, v37
	v_fma_f32 v37, v46, s12, -v33
	v_fmac_f32_e32 v33, 0x3d64c772, v38
	v_fma_f32 v38, v39, s6, -v47
	v_fma_f32 v46, v34, s13, -v50
	v_fmac_f32_e32 v47, 0xbeae86e6, v35
	v_fma_f32 v39, v30, s6, -v48
	v_fma_f32 v44, v35, s13, -v49
	v_add_f32_e32 v42, v42, v40
	v_add_f32_e32 v43, v43, v51
	v_fmac_f32_e32 v38, 0xbee1c552, v31
	v_fmac_f32_e32 v46, 0xbee1c552, v36
	;; [unrolled: 1-line block ×3, first 2 shown]
	v_add_f32_e32 v49, v32, v51
	v_add_f32_e32 v50, v33, v40
	;; [unrolled: 1-line block ×4, first 2 shown]
	v_fmac_f32_e32 v47, 0xbee1c552, v31
	v_fmac_f32_e32 v39, 0xbee1c552, v36
	;; [unrolled: 1-line block ×3, first 2 shown]
	v_add_f32_e32 v32, v46, v43
	v_add_f32_e32 v35, v38, v42
	v_sub_f32_e32 v37, v42, v38
	v_sub_f32_e32 v38, v43, v46
	v_add_f32_e32 v42, v45, v64
	v_add_f32_e32 v46, v56, v62
	v_fmac_f32_e32 v48, 0xbee1c552, v36
	v_sub_f32_e32 v31, v50, v47
	v_sub_f32_e32 v33, v40, v44
	;; [unrolled: 1-line block ×3, first 2 shown]
	v_add_f32_e32 v36, v39, v41
	v_add_f32_e32 v39, v44, v40
	;; [unrolled: 1-line block ×4, first 2 shown]
	v_sub_f32_e32 v44, v45, v64
	v_sub_f32_e32 v45, v53, v54
	v_add_f32_e32 v47, v57, v63
	v_add_f32_e32 v50, v58, v60
	;; [unrolled: 1-line block ×4, first 2 shown]
	v_sub_f32_e32 v40, v49, v48
	v_sub_f32_e32 v48, v56, v62
	v_add_f32_e32 v51, v59, v61
	v_add_f32_e32 v55, v47, v43
	v_sub_f32_e32 v56, v46, v42
	v_sub_f32_e32 v42, v42, v50
	;; [unrolled: 1-line block ×3, first 2 shown]
	v_add_f32_e32 v50, v50, v54
	v_sub_f32_e32 v49, v57, v63
	v_sub_f32_e32 v52, v60, v58
	;; [unrolled: 1-line block ×6, first 2 shown]
	v_add_f32_e32 v51, v51, v55
	v_add_f32_e32 v14, v14, v50
	;; [unrolled: 1-line block ×4, first 2 shown]
	v_sub_f32_e32 v60, v52, v48
	v_sub_f32_e32 v61, v53, v49
	;; [unrolled: 1-line block ×4, first 2 shown]
	v_add_f32_e32 v15, v15, v51
	v_mov_b32_e32 v62, v14
	v_sub_f32_e32 v52, v44, v52
	v_sub_f32_e32 v53, v45, v53
	v_add_f32_e32 v44, v58, v44
	v_add_f32_e32 v45, v59, v45
	v_mul_f32_e32 v42, 0x3f4a47b2, v42
	v_mul_f32_e32 v43, 0x3f4a47b2, v43
	;; [unrolled: 1-line block ×8, first 2 shown]
	v_fmac_f32_e32 v62, 0xbf955555, v50
	v_mov_b32_e32 v50, v15
	v_fmac_f32_e32 v50, 0xbf955555, v51
	v_fma_f32 v51, v56, s7, -v54
	v_fma_f32 v54, v57, s7, -v55
	;; [unrolled: 1-line block ×3, first 2 shown]
	v_fmac_f32_e32 v42, 0x3d64c772, v46
	v_fma_f32 v46, v57, s12, -v43
	v_fmac_f32_e32 v43, 0x3d64c772, v47
	v_fma_f32 v56, v48, s6, -v58
	;; [unrolled: 2-line block ×4, first 2 shown]
	v_fma_f32 v53, v53, s13, -v61
	v_add_f32_e32 v57, v42, v62
	v_add_f32_e32 v60, v43, v50
	;; [unrolled: 1-line block ×6, first 2 shown]
	v_fmac_f32_e32 v58, 0xbee1c552, v44
	v_fmac_f32_e32 v59, 0xbee1c552, v45
	;; [unrolled: 1-line block ×6, first 2 shown]
	v_add_f32_e32 v42, v59, v57
	v_sub_f32_e32 v43, v60, v58
	v_add_f32_e32 v44, v53, v54
	v_sub_f32_e32 v45, v55, v52
	v_sub_f32_e32 v46, v49, v48
	v_add_f32_e32 v47, v56, v51
	v_add_f32_e32 v48, v48, v49
	v_sub_f32_e32 v49, v51, v56
	v_sub_f32_e32 v50, v54, v53
	v_add_f32_e32 v51, v52, v55
	v_sub_f32_e32 v52, v57, v59
	v_add_f32_e32 v53, v58, v60
	ds_write_b64 v255, v[16:17] offset:1944
	ds_write_b64 v255, v[18:19] offset:3888
	;; [unrolled: 1-line block ×6, first 2 shown]
	ds_write2_b64 v255, v[12:13], v[20:21] offset1:63
	ds_write_b64 v255, v[32:33] offset:4392
	ds_write_b64 v255, v[34:35] offset:6336
	;; [unrolled: 1-line block ×6, first 2 shown]
	ds_write2_b64 v210, v[30:31], v[42:43] offset0:50 offset1:113
	ds_write_b64 v255, v[44:45] offset:4896
	ds_write_b64 v255, v[46:47] offset:6840
	;; [unrolled: 1-line block ×5, first 2 shown]
	s_and_saveexec_b64 s[2:3], s[0:1]
	s_cbranch_execz .LBB0_9
; %bb.8:
	buffer_load_dword v33, off, s[20:23], 0 offset:476 ; 4-byte Folded Reload
	buffer_load_dword v34, off, s[20:23], 0 offset:480 ; 4-byte Folded Reload
	;; [unrolled: 1-line block ×8, first 2 shown]
	buffer_load_dword v37, off, s[20:23], 0 ; 4-byte Folded Reload
	buffer_load_dword v38, off, s[20:23], 0 offset:4 ; 4-byte Folded Reload
	buffer_load_dword v29, off, s[20:23], 0 offset:460 ; 4-byte Folded Reload
	;; [unrolled: 1-line block ×5, first 2 shown]
	s_waitcnt vmcnt(8)
	v_mul_f32_e32 v20, v26, v1
	v_mul_f32_e32 v12, v34, v5
	v_fmac_f32_e32 v12, v33, v4
	s_waitcnt vmcnt(2)
	v_mul_f32_e32 v16, v30, v9
	v_fmac_f32_e32 v16, v29, v8
	v_mul_f32_e32 v8, v30, v8
	v_mul_f32_e32 v24, v28, v37
	;; [unrolled: 1-line block ×3, first 2 shown]
	v_fma_f32 v8, v29, v9, -v8
	s_waitcnt vmcnt(0)
	v_mul_f32_e32 v9, v32, v10
	v_mul_f32_e32 v15, v32, v11
	v_fmac_f32_e32 v20, v25, v0
	v_fma_f32 v24, v27, v38, -v24
	v_fma_f32 v4, v33, v5, -v4
	;; [unrolled: 1-line block ×3, first 2 shown]
	v_mul_f32_e32 v0, v26, v0
	v_fmac_f32_e32 v15, v31, v10
	v_mul_f32_e32 v19, v36, v7
	v_add_f32_e32 v5, v24, v4
	v_add_f32_e32 v10, v8, v9
	v_fma_f32 v25, v25, v1, -v0
	v_mul_f32_e32 v0, v36, v6
	v_fmac_f32_e32 v19, v35, v6
	v_sub_f32_e32 v11, v5, v10
	v_fma_f32 v6, v35, v7, -v0
	v_mul_f32_e32 v13, v28, v38
	v_mul_f32_e32 v11, 0x3f4a47b2, v11
	v_add_f32_e32 v7, v25, v6
	v_fmac_f32_e32 v13, v27, v37
	v_sub_f32_e32 v0, v10, v7
	v_mov_b32_e32 v27, v11
	v_mul_f32_e32 v26, 0x3d64c772, v0
	v_fmac_f32_e32 v27, 0x3d64c772, v0
	v_add_f32_e32 v0, v7, v5
	v_add_f32_e32 v0, v10, v0
	;; [unrolled: 1-line block ×3, first 2 shown]
	v_mov_b32_e32 v10, v1
	v_sub_f32_e32 v14, v12, v13
	v_fmac_f32_e32 v10, 0xbf955555, v0
	v_add_f32_e32 v12, v13, v12
	v_add_f32_e32 v0, v16, v15
	v_sub_f32_e32 v13, v12, v0
	v_sub_f32_e32 v17, v15, v16
	v_mul_f32_e32 v13, 0x3f4a47b2, v13
	v_add_f32_e32 v15, v20, v19
	v_sub_f32_e32 v21, v19, v20
	v_sub_f32_e32 v16, v0, v15
	v_mov_b32_e32 v20, v13
	v_mul_f32_e32 v19, 0x3d64c772, v16
	v_fmac_f32_e32 v20, 0x3d64c772, v16
	v_add_f32_e32 v16, v15, v12
	v_add_f32_e32 v16, v0, v16
	;; [unrolled: 1-line block ×3, first 2 shown]
	v_sub_f32_e32 v2, v9, v8
	v_sub_f32_e32 v6, v6, v25
	;; [unrolled: 1-line block ×3, first 2 shown]
	v_mov_b32_e32 v28, v0
	v_sub_f32_e32 v4, v4, v24
	v_sub_f32_e32 v9, v2, v6
	;; [unrolled: 1-line block ×3, first 2 shown]
	v_mul_f32_e32 v22, 0x3f08b237, v22
	v_add_f32_e32 v17, v17, v21
	v_fmac_f32_e32 v28, 0xbf955555, v16
	v_sub_f32_e32 v8, v4, v2
	v_mul_f32_e32 v9, 0x3f08b237, v9
	v_add_f32_e32 v2, v2, v6
	v_sub_f32_e32 v7, v7, v5
	v_sub_f32_e32 v6, v6, v4
	v_mov_b32_e32 v23, v22
	v_add_f32_e32 v17, v17, v14
	v_add_f32_e32 v16, v20, v28
	v_mov_b32_e32 v20, v9
	v_add_f32_e32 v24, v2, v4
	v_sub_f32_e32 v14, v21, v14
	v_fma_f32 v5, v7, s12, -v11
	v_sub_f32_e32 v12, v15, v12
	v_mul_f32_e32 v4, 0xbf5ff5aa, v6
	v_fma_f32 v7, v7, s7, -v26
	v_fmac_f32_e32 v23, 0xbeae86e6, v18
	v_add_f32_e32 v27, v27, v10
	v_fmac_f32_e32 v20, 0xbeae86e6, v8
	v_mul_f32_e32 v21, 0xbf5ff5aa, v14
	v_add_f32_e32 v11, v5, v10
	v_fma_f32 v13, v12, s12, -v13
	v_fma_f32 v15, v8, s13, -v4
	v_add_f32_e32 v8, v7, v10
	v_fma_f32 v10, v14, s6, -v22
	v_fma_f32 v14, v6, s6, -v9
	;; [unrolled: 1-line block ×3, first 2 shown]
	v_fmac_f32_e32 v23, 0xbee1c552, v17
	v_fmac_f32_e32 v20, 0xbee1c552, v24
	v_fma_f32 v18, v18, s13, -v21
	v_add_f32_e32 v13, v13, v28
	v_fmac_f32_e32 v15, 0xbee1c552, v24
	v_fmac_f32_e32 v10, 0xbee1c552, v17
	;; [unrolled: 1-line block ×3, first 2 shown]
	v_add_f32_e32 v12, v6, v28
	v_fmac_f32_e32 v18, 0xbee1c552, v17
	v_sub_f32_e32 v4, v13, v15
	v_sub_f32_e32 v7, v8, v10
	v_add_f32_e32 v6, v14, v12
	v_add_f32_e32 v9, v10, v8
	v_sub_f32_e32 v8, v12, v14
	v_add_f32_e32 v10, v15, v13
	v_sub_f32_e32 v13, v27, v23
	v_add_f32_e32 v12, v20, v16
	v_add_u32_e32 v14, 0x5c0, v255
	v_add_f32_e32 v5, v18, v11
	v_sub_f32_e32 v11, v11, v18
	ds_write2_b64 v14, v[0:1], v[12:13] offset0:5 offset1:248
	v_add_u32_e32 v0, 0x1500, v255
	ds_write2_b64 v0, v[10:11], v[8:9] offset0:3 offset1:246
	v_add_u32_e32 v0, 0x2400, v255
	v_add_f32_e32 v3, v23, v27
	v_sub_f32_e32 v2, v16, v20
	ds_write2_b64 v0, v[6:7], v[4:5] offset0:9 offset1:252
	ds_write_b64 v255, v[2:3] offset:13176
.LBB0_9:
	s_or_b64 exec, exec, s[2:3]
	buffer_load_dword v0, off, s[20:23], 0 offset:128 ; 4-byte Folded Reload
	buffer_load_dword v1, off, s[20:23], 0 offset:132 ; 4-byte Folded Reload
	s_waitcnt lgkmcnt(0)
	; wave barrier
	s_waitcnt lgkmcnt(0)
	ds_read2_b64 v[2:5], v255 offset1:63
	buffer_load_dword v11, off, s[20:23], 0 offset:196 ; 4-byte Folded Reload
	buffer_load_dword v12, off, s[20:23], 0 offset:200 ; 4-byte Folded Reload
	s_waitcnt vmcnt(3)
	v_mov_b32_e32 v10, v0
	v_mad_u64_u32 v[6:7], s[0:1], s10, v10, 0
	s_mov_b32 s0, 0x9c850ab
	s_waitcnt vmcnt(0) lgkmcnt(0)
	v_mul_f32_e32 v1, v12, v3
	v_fmac_f32_e32 v1, v11, v2
	v_mov_b32_e32 v0, v7
	v_cvt_f64_f32_e32 v[7:8], v1
	v_mul_f32_e32 v1, v12, v2
	v_fma_f32 v1, v11, v3, -v1
	v_cvt_f64_f32_e32 v[1:2], v1
	s_mov_b32 s1, 0x3f434393
	v_mul_f64 v[8:9], v[7:8], s[0:1]
	v_mul_f64 v[1:2], v[1:2], s[0:1]
	v_cvt_f32_f64_e32 v8, v[8:9]
	v_mad_u64_u32 v[10:11], s[2:3], s11, v10, v[0:1]
	v_mad_u64_u32 v[11:12], s[2:3], s8, v254, 0
	v_cvt_f32_f64_e32 v9, v[1:2]
	v_mov_b32_e32 v7, v10
	v_mov_b32_e32 v0, v12
	v_mad_u64_u32 v[12:13], s[2:3], s9, v254, v[0:1]
	v_add_u32_e32 v0, 0xc00, v255
	ds_read2_b64 v[0:3], v0 offset0:120 offset1:183
	buffer_load_dword v15, off, s[20:23], 0 offset:180 ; 4-byte Folded Reload
	buffer_load_dword v16, off, s[20:23], 0 offset:184 ; 4-byte Folded Reload
	v_lshlrev_b64 v[6:7], 3, v[6:7]
	v_mov_b32_e32 v10, s5
	s_mul_i32 s2, s9, 0x11b8
	s_mul_hi_u32 s3, s8, 0x11b8
	s_add_i32 s2, s3, s2
	s_mul_i32 s3, s8, 0x11b8
	s_mul_hi_u32 s5, s8, 0xffffde88
	s_sub_i32 s5, s5, s8
	s_waitcnt vmcnt(0) lgkmcnt(0)
	v_mul_f32_e32 v13, v16, v3
	v_fmac_f32_e32 v13, v15, v2
	v_mul_f32_e32 v2, v16, v2
	v_cvt_f64_f32_e32 v[13:14], v13
	v_fma_f32 v2, v15, v3, -v2
	v_add_co_u32_e32 v15, vcc, s4, v6
	v_addc_co_u32_e32 v16, vcc, v10, v7, vcc
	v_lshlrev_b64 v[6:7], 3, v[11:12]
	v_mul_f64 v[10:11], v[13:14], s[0:1]
	v_add_co_u32_e32 v12, vcc, v15, v6
	v_addc_co_u32_e32 v13, vcc, v16, v7, vcc
	global_store_dwordx2 v[12:13], v[8:9], off
	v_add_u32_e32 v6, 0x2000, v255
	ds_read2_b64 v[6:9], v6 offset0:110 offset1:173
	buffer_load_dword v15, off, s[20:23], 0 offset:148 ; 4-byte Folded Reload
	buffer_load_dword v16, off, s[20:23], 0 offset:152 ; 4-byte Folded Reload
	v_cvt_f64_f32_e32 v[2:3], v2
	v_cvt_f32_f64_e32 v10, v[10:11]
	v_mov_b32_e32 v14, s2
	v_add_co_u32_e32 v12, vcc, s3, v12
	v_mul_f64 v[2:3], v[2:3], s[0:1]
	v_addc_co_u32_e32 v13, vcc, v13, v14, vcc
	s_mul_i32 s4, s9, 0xffffde88
	s_add_i32 s5, s5, s4
	s_mul_i32 s4, s8, 0xffffde88
	v_cvt_f32_f64_e32 v11, v[2:3]
	global_store_dwordx2 v[12:13], v[10:11], off
	v_add_co_u32_e32 v12, vcc, s3, v12
	s_waitcnt vmcnt(1) lgkmcnt(0)
	v_mul_f32_e32 v2, v16, v7
	v_fmac_f32_e32 v2, v15, v6
	v_mul_f32_e32 v6, v16, v6
	v_fma_f32 v6, v15, v7, -v6
	buffer_load_dword v14, off, s[20:23], 0 offset:156 ; 4-byte Folded Reload
	buffer_load_dword v15, off, s[20:23], 0 offset:160 ; 4-byte Folded Reload
	v_cvt_f64_f32_e32 v[2:3], v2
	v_cvt_f64_f32_e32 v[6:7], v6
	v_mov_b32_e32 v16, s2
	v_mul_f64 v[2:3], v[2:3], s[0:1]
	v_mul_f64 v[6:7], v[6:7], s[0:1]
	v_cvt_f32_f64_e32 v2, v[2:3]
	s_waitcnt vmcnt(0)
	v_mul_f32_e32 v3, v15, v5
	v_fmac_f32_e32 v3, v14, v4
	v_cvt_f64_f32_e32 v[10:11], v3
	v_mul_f32_e32 v3, v15, v4
	v_fma_f32 v3, v14, v5, -v3
	v_cvt_f64_f32_e32 v[4:5], v3
	v_cvt_f32_f64_e32 v3, v[6:7]
	v_mov_b32_e32 v14, s2
	v_addc_co_u32_e32 v13, vcc, v13, v14, vcc
	global_store_dwordx2 v[12:13], v[2:3], off
	v_add_u32_e32 v2, 0x1000, v255
	v_mul_f64 v[6:7], v[10:11], s[0:1]
	v_mul_f64 v[10:11], v[4:5], s[0:1]
	ds_read2_b64 v[2:5], v2 offset0:118 offset1:181
	buffer_load_dword v14, off, s[20:23], 0 offset:136 ; 4-byte Folded Reload
	buffer_load_dword v15, off, s[20:23], 0 offset:140 ; 4-byte Folded Reload
	v_add_co_u32_e32 v12, vcc, s4, v12
	v_cvt_f32_f64_e32 v6, v[6:7]
	v_cvt_f32_f64_e32 v7, v[10:11]
	s_waitcnt vmcnt(0) lgkmcnt(0)
	v_mul_f32_e32 v10, v15, v3
	v_fmac_f32_e32 v10, v14, v2
	v_mul_f32_e32 v2, v15, v2
	v_fma_f32 v2, v14, v3, -v2
	v_mov_b32_e32 v14, s5
	v_addc_co_u32_e32 v13, vcc, v13, v14, vcc
	global_store_dwordx2 v[12:13], v[6:7], off
	buffer_load_dword v14, off, s[20:23], 0 offset:120 ; 4-byte Folded Reload
	buffer_load_dword v15, off, s[20:23], 0 offset:124 ; 4-byte Folded Reload
	v_cvt_f64_f32_e32 v[10:11], v10
	v_cvt_f64_f32_e32 v[2:3], v2
	v_add_co_u32_e32 v12, vcc, s3, v12
	v_mul_f64 v[10:11], v[10:11], s[0:1]
	v_mul_f64 v[2:3], v[2:3], s[0:1]
	v_addc_co_u32_e32 v13, vcc, v13, v16, vcc
	v_cvt_f32_f64_e32 v10, v[10:11]
	v_cvt_f32_f64_e32 v11, v[2:3]
	global_store_dwordx2 v[12:13], v[10:11], off
	v_add_co_u32_e32 v12, vcc, s3, v12
	s_waitcnt vmcnt(1)
	v_mul_f32_e32 v6, v15, v8
	v_mul_f32_e32 v2, v15, v9
	v_fma_f32 v6, v14, v9, -v6
	v_fmac_f32_e32 v2, v14, v8
	v_cvt_f64_f32_e32 v[14:15], v6
	ds_read2_b64 v[6:9], v255 offset0:126 offset1:189
	buffer_load_dword v16, off, s[20:23], 0 offset:112 ; 4-byte Folded Reload
	buffer_load_dword v17, off, s[20:23], 0 offset:116 ; 4-byte Folded Reload
	v_cvt_f64_f32_e32 v[2:3], v2
	v_mul_f64 v[10:11], v[14:15], s[0:1]
	v_mul_f64 v[2:3], v[2:3], s[0:1]
	v_cvt_f32_f64_e32 v2, v[2:3]
	v_cvt_f32_f64_e32 v3, v[10:11]
	s_waitcnt vmcnt(0) lgkmcnt(0)
	v_mul_f32_e32 v14, v17, v7
	v_fmac_f32_e32 v14, v16, v6
	v_cvt_f64_f32_e32 v[14:15], v14
	v_mul_f32_e32 v6, v17, v6
	v_fma_f32 v6, v16, v7, -v6
	v_cvt_f64_f32_e32 v[6:7], v6
	v_mul_f64 v[10:11], v[14:15], s[0:1]
	v_mov_b32_e32 v14, s2
	v_addc_co_u32_e32 v13, vcc, v13, v14, vcc
	global_store_dwordx2 v[12:13], v[2:3], off
	buffer_load_dword v14, off, s[20:23], 0 offset:104 ; 4-byte Folded Reload
	buffer_load_dword v15, off, s[20:23], 0 offset:108 ; 4-byte Folded Reload
	v_mul_f64 v[6:7], v[6:7], s[0:1]
	v_mov_b32_e32 v16, s5
	v_cvt_f32_f64_e32 v10, v[10:11]
	v_add_co_u32_e32 v12, vcc, s4, v12
	v_addc_co_u32_e32 v13, vcc, v13, v16, vcc
	v_cvt_f32_f64_e32 v11, v[6:7]
	global_store_dwordx2 v[12:13], v[10:11], off
	v_add_co_u32_e32 v12, vcc, s3, v12
	s_waitcnt vmcnt(1)
	v_mul_f32_e32 v2, v15, v5
	v_fmac_f32_e32 v2, v14, v4
	v_cvt_f64_f32_e32 v[6:7], v2
	v_mul_f32_e32 v2, v15, v4
	v_fma_f32 v2, v14, v5, -v2
	v_cvt_f64_f32_e32 v[14:15], v2
	v_add_u32_e32 v2, 0x2400, v255
	ds_read2_b64 v[2:5], v2 offset0:108 offset1:171
	buffer_load_dword v16, off, s[20:23], 0 offset:80 ; 4-byte Folded Reload
	buffer_load_dword v17, off, s[20:23], 0 offset:84 ; 4-byte Folded Reload
	v_mul_f64 v[6:7], v[6:7], s[0:1]
	v_mul_f64 v[10:11], v[14:15], s[0:1]
	v_cvt_f32_f64_e32 v6, v[6:7]
	v_cvt_f32_f64_e32 v7, v[10:11]
	s_waitcnt vmcnt(0) lgkmcnt(0)
	v_mul_f32_e32 v14, v17, v3
	v_fmac_f32_e32 v14, v16, v2
	v_cvt_f64_f32_e32 v[14:15], v14
	v_mul_f32_e32 v2, v17, v2
	v_fma_f32 v2, v16, v3, -v2
	v_cvt_f64_f32_e32 v[2:3], v2
	v_mul_f64 v[10:11], v[14:15], s[0:1]
	v_mov_b32_e32 v14, s2
	v_addc_co_u32_e32 v13, vcc, v13, v14, vcc
	global_store_dwordx2 v[12:13], v[6:7], off
	buffer_load_dword v14, off, s[20:23], 0 offset:72 ; 4-byte Folded Reload
	buffer_load_dword v15, off, s[20:23], 0 offset:76 ; 4-byte Folded Reload
	v_mul_f64 v[2:3], v[2:3], s[0:1]
	v_mov_b32_e32 v16, s2
	v_cvt_f32_f64_e32 v10, v[10:11]
	v_add_co_u32_e32 v12, vcc, s3, v12
	v_addc_co_u32_e32 v13, vcc, v13, v16, vcc
	v_cvt_f32_f64_e32 v11, v[2:3]
	global_store_dwordx2 v[12:13], v[10:11], off
	v_add_co_u32_e32 v12, vcc, s4, v12
	s_waitcnt vmcnt(1)
	v_mul_f32_e32 v6, v15, v8
	v_mul_f32_e32 v2, v15, v9
	v_fma_f32 v6, v14, v9, -v6
	v_fmac_f32_e32 v2, v14, v8
	v_cvt_f64_f32_e32 v[14:15], v6
	v_add_u32_e32 v6, 0x1400, v255
	ds_read2_b64 v[6:9], v6 offset0:116 offset1:179
	buffer_load_dword v16, off, s[20:23], 0 offset:48 ; 4-byte Folded Reload
	buffer_load_dword v17, off, s[20:23], 0 offset:52 ; 4-byte Folded Reload
	v_cvt_f64_f32_e32 v[2:3], v2
	v_mul_f64 v[10:11], v[14:15], s[0:1]
	v_mul_f64 v[2:3], v[2:3], s[0:1]
	v_cvt_f32_f64_e32 v2, v[2:3]
	v_cvt_f32_f64_e32 v3, v[10:11]
	s_waitcnt vmcnt(0) lgkmcnt(0)
	v_mul_f32_e32 v14, v17, v7
	v_fmac_f32_e32 v14, v16, v6
	v_cvt_f64_f32_e32 v[14:15], v14
	v_mul_f32_e32 v6, v17, v6
	v_fma_f32 v6, v16, v7, -v6
	v_cvt_f64_f32_e32 v[6:7], v6
	v_mul_f64 v[10:11], v[14:15], s[0:1]
	v_mov_b32_e32 v14, s5
	v_addc_co_u32_e32 v13, vcc, v13, v14, vcc
	global_store_dwordx2 v[12:13], v[2:3], off
	buffer_load_dword v14, off, s[20:23], 0 offset:32 ; 4-byte Folded Reload
	buffer_load_dword v15, off, s[20:23], 0 offset:36 ; 4-byte Folded Reload
	v_mul_f64 v[6:7], v[6:7], s[0:1]
	v_mov_b32_e32 v16, s2
	v_cvt_f32_f64_e32 v10, v[10:11]
	v_add_co_u32_e32 v12, vcc, s3, v12
	v_addc_co_u32_e32 v13, vcc, v13, v16, vcc
	v_cvt_f32_f64_e32 v11, v[6:7]
	global_store_dwordx2 v[12:13], v[10:11], off
	v_add_co_u32_e32 v12, vcc, s3, v12
	s_waitcnt vmcnt(1)
	v_mul_f32_e32 v2, v15, v5
	v_fmac_f32_e32 v2, v14, v4
	v_cvt_f64_f32_e32 v[6:7], v2
	v_mul_f32_e32 v2, v15, v4
	v_fma_f32 v2, v14, v5, -v2
	v_cvt_f64_f32_e32 v[14:15], v2
	v_add_u32_e32 v2, 0x400, v255
	ds_read2_b64 v[2:5], v2 offset0:124 offset1:187
	buffer_load_dword v16, off, s[20:23], 0 offset:24 ; 4-byte Folded Reload
	buffer_load_dword v17, off, s[20:23], 0 offset:28 ; 4-byte Folded Reload
	v_mul_f64 v[6:7], v[6:7], s[0:1]
	v_mul_f64 v[10:11], v[14:15], s[0:1]
	v_cvt_f32_f64_e32 v6, v[6:7]
	v_cvt_f32_f64_e32 v7, v[10:11]
	s_waitcnt vmcnt(0) lgkmcnt(0)
	v_mul_f32_e32 v14, v17, v3
	v_fmac_f32_e32 v14, v16, v2
	v_cvt_f64_f32_e32 v[14:15], v14
	v_mul_f32_e32 v2, v17, v2
	v_fma_f32 v2, v16, v3, -v2
	v_cvt_f64_f32_e32 v[2:3], v2
	v_mul_f64 v[10:11], v[14:15], s[0:1]
	v_mov_b32_e32 v14, s2
	v_addc_co_u32_e32 v13, vcc, v13, v14, vcc
	global_store_dwordx2 v[12:13], v[6:7], off
	buffer_load_dword v14, off, s[20:23], 0 offset:228 ; 4-byte Folded Reload
	buffer_load_dword v15, off, s[20:23], 0 offset:232 ; 4-byte Folded Reload
	v_mul_f64 v[2:3], v[2:3], s[0:1]
	v_mov_b32_e32 v16, s5
	v_cvt_f32_f64_e32 v10, v[10:11]
	v_add_co_u32_e32 v12, vcc, s4, v12
	v_addc_co_u32_e32 v13, vcc, v13, v16, vcc
	v_cvt_f32_f64_e32 v11, v[2:3]
	global_store_dwordx2 v[12:13], v[10:11], off
	v_add_co_u32_e32 v12, vcc, s3, v12
	s_waitcnt vmcnt(1)
	v_mul_f32_e32 v6, v15, v8
	v_mul_f32_e32 v2, v15, v9
	v_fma_f32 v6, v14, v9, -v6
	v_fmac_f32_e32 v2, v14, v8
	v_cvt_f64_f32_e32 v[14:15], v6
	v_add_u32_e32 v6, 0x2800, v255
	ds_read2_b64 v[6:9], v6 offset0:106 offset1:169
	buffer_load_dword v16, off, s[20:23], 0 offset:220 ; 4-byte Folded Reload
	buffer_load_dword v17, off, s[20:23], 0 offset:224 ; 4-byte Folded Reload
	v_cvt_f64_f32_e32 v[2:3], v2
	v_mul_f64 v[10:11], v[14:15], s[0:1]
	v_mul_f64 v[2:3], v[2:3], s[0:1]
	v_cvt_f32_f64_e32 v2, v[2:3]
	v_cvt_f32_f64_e32 v3, v[10:11]
	s_waitcnt vmcnt(0) lgkmcnt(0)
	v_mul_f32_e32 v14, v17, v7
	v_fmac_f32_e32 v14, v16, v6
	v_cvt_f64_f32_e32 v[14:15], v14
	v_mul_f32_e32 v6, v17, v6
	v_fma_f32 v6, v16, v7, -v6
	v_cvt_f64_f32_e32 v[6:7], v6
	v_mul_f64 v[10:11], v[14:15], s[0:1]
	v_mov_b32_e32 v14, s2
	v_addc_co_u32_e32 v13, vcc, v13, v14, vcc
	global_store_dwordx2 v[12:13], v[2:3], off
	buffer_load_dword v14, off, s[20:23], 0 offset:212 ; 4-byte Folded Reload
	buffer_load_dword v15, off, s[20:23], 0 offset:216 ; 4-byte Folded Reload
	v_mul_f64 v[6:7], v[6:7], s[0:1]
	v_mov_b32_e32 v16, s2
	v_cvt_f32_f64_e32 v10, v[10:11]
	v_add_co_u32_e32 v12, vcc, s3, v12
	v_addc_co_u32_e32 v13, vcc, v13, v16, vcc
	v_cvt_f32_f64_e32 v11, v[6:7]
	global_store_dwordx2 v[12:13], v[10:11], off
	v_add_co_u32_e32 v12, vcc, s4, v12
	s_waitcnt vmcnt(1)
	v_mul_f32_e32 v2, v15, v5
	v_fmac_f32_e32 v2, v14, v4
	v_cvt_f64_f32_e32 v[6:7], v2
	v_mul_f32_e32 v2, v15, v4
	v_fma_f32 v2, v14, v5, -v2
	v_cvt_f64_f32_e32 v[14:15], v2
	v_add_u32_e32 v2, 0x1800, v255
	ds_read2_b64 v[2:5], v2 offset0:114 offset1:177
	buffer_load_dword v16, off, s[20:23], 0 offset:204 ; 4-byte Folded Reload
	buffer_load_dword v17, off, s[20:23], 0 offset:208 ; 4-byte Folded Reload
	v_mul_f64 v[6:7], v[6:7], s[0:1]
	v_mul_f64 v[10:11], v[14:15], s[0:1]
	v_cvt_f32_f64_e32 v6, v[6:7]
	v_cvt_f32_f64_e32 v7, v[10:11]
	s_waitcnt vmcnt(0) lgkmcnt(0)
	v_mul_f32_e32 v14, v17, v3
	v_fmac_f32_e32 v14, v16, v2
	v_cvt_f64_f32_e32 v[14:15], v14
	v_mul_f32_e32 v2, v17, v2
	v_fma_f32 v2, v16, v3, -v2
	v_cvt_f64_f32_e32 v[2:3], v2
	v_mul_f64 v[10:11], v[14:15], s[0:1]
	v_mov_b32_e32 v14, s5
	v_addc_co_u32_e32 v13, vcc, v13, v14, vcc
	global_store_dwordx2 v[12:13], v[6:7], off
	buffer_load_dword v14, off, s[20:23], 0 offset:188 ; 4-byte Folded Reload
	buffer_load_dword v15, off, s[20:23], 0 offset:192 ; 4-byte Folded Reload
	v_mul_f64 v[2:3], v[2:3], s[0:1]
	v_mov_b32_e32 v16, s2
	v_cvt_f32_f64_e32 v10, v[10:11]
	v_add_co_u32_e32 v12, vcc, s3, v12
	v_addc_co_u32_e32 v13, vcc, v13, v16, vcc
	v_cvt_f32_f64_e32 v11, v[2:3]
	global_store_dwordx2 v[12:13], v[10:11], off
	v_add_co_u32_e32 v12, vcc, s3, v12
	s_waitcnt vmcnt(1)
	v_mul_f32_e32 v6, v15, v8
	v_mul_f32_e32 v2, v15, v9
	v_fma_f32 v6, v14, v9, -v6
	v_fmac_f32_e32 v2, v14, v8
	v_cvt_f64_f32_e32 v[14:15], v6
	v_add_u32_e32 v6, 0x800, v255
	ds_read2_b64 v[6:9], v6 offset0:122 offset1:185
	buffer_load_dword v16, off, s[20:23], 0 offset:164 ; 4-byte Folded Reload
	buffer_load_dword v17, off, s[20:23], 0 offset:168 ; 4-byte Folded Reload
	v_cvt_f64_f32_e32 v[2:3], v2
	v_mul_f64 v[10:11], v[14:15], s[0:1]
	v_mul_f64 v[2:3], v[2:3], s[0:1]
	v_cvt_f32_f64_e32 v2, v[2:3]
	v_cvt_f32_f64_e32 v3, v[10:11]
	s_waitcnt vmcnt(0) lgkmcnt(0)
	v_mul_f32_e32 v14, v17, v7
	v_fmac_f32_e32 v14, v16, v6
	v_cvt_f64_f32_e32 v[14:15], v14
	v_mul_f32_e32 v6, v17, v6
	v_fma_f32 v6, v16, v7, -v6
	v_cvt_f64_f32_e32 v[6:7], v6
	v_mul_f64 v[10:11], v[14:15], s[0:1]
	v_mov_b32_e32 v14, s2
	v_addc_co_u32_e32 v13, vcc, v13, v14, vcc
	global_store_dwordx2 v[12:13], v[2:3], off
	buffer_load_dword v14, off, s[20:23], 0 offset:172 ; 4-byte Folded Reload
	buffer_load_dword v15, off, s[20:23], 0 offset:176 ; 4-byte Folded Reload
	v_mul_f64 v[6:7], v[6:7], s[0:1]
	v_mov_b32_e32 v16, s5
	v_cvt_f32_f64_e32 v10, v[10:11]
	v_add_co_u32_e32 v12, vcc, s4, v12
	v_addc_co_u32_e32 v13, vcc, v13, v16, vcc
	v_cvt_f32_f64_e32 v11, v[6:7]
	global_store_dwordx2 v[12:13], v[10:11], off
	v_add_co_u32_e32 v12, vcc, s3, v12
	s_waitcnt vmcnt(1)
	v_mul_f32_e32 v2, v15, v5
	v_fmac_f32_e32 v2, v14, v4
	v_cvt_f64_f32_e32 v[6:7], v2
	v_mul_f32_e32 v2, v15, v4
	v_fma_f32 v2, v14, v5, -v2
	v_cvt_f64_f32_e32 v[14:15], v2
	v_add_u32_e32 v2, 0x2c00, v255
	ds_read2_b64 v[2:5], v2 offset0:104 offset1:167
	buffer_load_dword v16, off, s[20:23], 0 offset:88 ; 4-byte Folded Reload
	buffer_load_dword v17, off, s[20:23], 0 offset:92 ; 4-byte Folded Reload
	v_mul_f64 v[6:7], v[6:7], s[0:1]
	v_mul_f64 v[10:11], v[14:15], s[0:1]
	v_cvt_f32_f64_e32 v6, v[6:7]
	v_cvt_f32_f64_e32 v7, v[10:11]
	s_waitcnt vmcnt(0) lgkmcnt(0)
	v_mul_f32_e32 v14, v17, v3
	v_fmac_f32_e32 v14, v16, v2
	v_cvt_f64_f32_e32 v[14:15], v14
	v_mul_f32_e32 v2, v17, v2
	v_fma_f32 v2, v16, v3, -v2
	v_cvt_f64_f32_e32 v[2:3], v2
	v_mul_f64 v[10:11], v[14:15], s[0:1]
	v_mov_b32_e32 v14, s2
	v_addc_co_u32_e32 v13, vcc, v13, v14, vcc
	global_store_dwordx2 v[12:13], v[6:7], off
	buffer_load_dword v14, off, s[20:23], 0 offset:56 ; 4-byte Folded Reload
	buffer_load_dword v15, off, s[20:23], 0 offset:60 ; 4-byte Folded Reload
	v_mul_f64 v[2:3], v[2:3], s[0:1]
	v_mov_b32_e32 v16, s2
	v_cvt_f32_f64_e32 v10, v[10:11]
	v_add_co_u32_e32 v12, vcc, s3, v12
	v_addc_co_u32_e32 v13, vcc, v13, v16, vcc
	v_cvt_f32_f64_e32 v11, v[2:3]
	global_store_dwordx2 v[12:13], v[10:11], off
	v_add_co_u32_e32 v12, vcc, s4, v12
	s_waitcnt vmcnt(1)
	v_mul_f32_e32 v6, v15, v8
	v_mul_f32_e32 v2, v15, v9
	v_fma_f32 v6, v14, v9, -v6
	v_fmac_f32_e32 v2, v14, v8
	v_cvt_f64_f32_e32 v[14:15], v6
	v_add_u32_e32 v6, 0x1c00, v255
	ds_read2_b64 v[6:9], v6 offset0:112 offset1:175
	buffer_load_dword v16, off, s[20:23], 0 offset:96 ; 4-byte Folded Reload
	buffer_load_dword v17, off, s[20:23], 0 offset:100 ; 4-byte Folded Reload
	v_cvt_f64_f32_e32 v[2:3], v2
	v_mul_f64 v[10:11], v[14:15], s[0:1]
	v_mul_f64 v[2:3], v[2:3], s[0:1]
	v_cvt_f32_f64_e32 v2, v[2:3]
	v_cvt_f32_f64_e32 v3, v[10:11]
	s_waitcnt vmcnt(0) lgkmcnt(0)
	v_mul_f32_e32 v14, v17, v7
	v_fmac_f32_e32 v14, v16, v6
	v_mul_f32_e32 v6, v17, v6
	v_cvt_f64_f32_e32 v[14:15], v14
	v_fma_f32 v6, v16, v7, -v6
	v_cvt_f64_f32_e32 v[6:7], v6
	v_mul_f64 v[10:11], v[14:15], s[0:1]
	v_mov_b32_e32 v14, s5
	v_mul_f64 v[6:7], v[6:7], s[0:1]
	v_addc_co_u32_e32 v13, vcc, v13, v14, vcc
	global_store_dwordx2 v[12:13], v[2:3], off
	buffer_load_dword v14, off, s[20:23], 0 offset:64 ; 4-byte Folded Reload
	buffer_load_dword v15, off, s[20:23], 0 offset:68 ; 4-byte Folded Reload
	v_cvt_f32_f64_e32 v2, v[10:11]
	v_mov_b32_e32 v11, s2
	v_cvt_f32_f64_e32 v3, v[6:7]
	v_add_co_u32_e32 v10, vcc, s3, v12
	v_addc_co_u32_e32 v11, vcc, v13, v11, vcc
	global_store_dwordx2 v[10:11], v[2:3], off
	buffer_load_dword v12, off, s[20:23], 0 offset:40 ; 4-byte Folded Reload
	buffer_load_dword v13, off, s[20:23], 0 offset:44 ; 4-byte Folded Reload
	s_waitcnt vmcnt(3)
	v_mul_f32_e32 v6, v15, v5
	v_fmac_f32_e32 v6, v14, v4
	v_mul_f32_e32 v4, v15, v4
	v_fma_f32 v4, v14, v5, -v4
	v_cvt_f64_f32_e32 v[6:7], v6
	v_cvt_f64_f32_e32 v[4:5], v4
	v_mul_f64 v[2:3], v[6:7], s[0:1]
	v_mul_f64 v[4:5], v[4:5], s[0:1]
	s_waitcnt vmcnt(0)
	v_mul_f32_e32 v6, v13, v1
	v_fmac_f32_e32 v6, v12, v0
	v_cvt_f64_f32_e32 v[6:7], v6
	v_mul_f32_e32 v0, v13, v0
	v_fma_f32 v0, v12, v1, -v0
	v_cvt_f64_f32_e32 v[0:1], v0
	v_cvt_f32_f64_e32 v2, v[2:3]
	v_cvt_f32_f64_e32 v3, v[4:5]
	v_mul_f64 v[4:5], v[6:7], s[0:1]
	v_mov_b32_e32 v7, s2
	v_add_co_u32_e32 v6, vcc, s3, v10
	v_addc_co_u32_e32 v7, vcc, v11, v7, vcc
	global_store_dwordx2 v[6:7], v[2:3], off
	buffer_load_dword v11, off, s[20:23], 0 offset:8 ; 4-byte Folded Reload
	buffer_load_dword v12, off, s[20:23], 0 offset:12 ; 4-byte Folded Reload
	v_mul_f64 v[0:1], v[0:1], s[0:1]
	v_cvt_f32_f64_e32 v2, v[4:5]
	v_mov_b32_e32 v10, s5
	v_add_co_u32_e32 v6, vcc, s4, v6
	v_addc_co_u32_e32 v7, vcc, v7, v10, vcc
	v_cvt_f32_f64_e32 v3, v[0:1]
	global_store_dwordx2 v[6:7], v[2:3], off
	v_add_co_u32_e32 v6, vcc, s3, v6
	s_waitcnt vmcnt(1)
	v_mul_f32_e32 v0, v12, v9
	v_mul_f32_e32 v4, v12, v8
	v_fmac_f32_e32 v0, v11, v8
	v_fma_f32 v4, v11, v9, -v4
	ds_read_b64 v[8:9], v255 offset:13104
	buffer_load_dword v10, off, s[20:23], 0 offset:16 ; 4-byte Folded Reload
	buffer_load_dword v11, off, s[20:23], 0 offset:20 ; 4-byte Folded Reload
	v_cvt_f64_f32_e32 v[0:1], v0
	v_cvt_f64_f32_e32 v[4:5], v4
	v_mul_f64 v[0:1], v[0:1], s[0:1]
	v_mul_f64 v[2:3], v[4:5], s[0:1]
	v_cvt_f32_f64_e32 v0, v[0:1]
	v_cvt_f32_f64_e32 v1, v[2:3]
	s_waitcnt vmcnt(0) lgkmcnt(0)
	v_mul_f32_e32 v4, v11, v9
	v_fmac_f32_e32 v4, v10, v8
	v_mul_f32_e32 v8, v11, v8
	v_fma_f32 v8, v10, v9, -v8
	v_cvt_f64_f32_e32 v[4:5], v4
	v_cvt_f64_f32_e32 v[8:9], v8
	v_mul_f64 v[2:3], v[4:5], s[0:1]
	v_mul_f64 v[4:5], v[8:9], s[0:1]
	v_mov_b32_e32 v8, s2
	v_addc_co_u32_e32 v7, vcc, v7, v8, vcc
	global_store_dwordx2 v[6:7], v[0:1], off
	v_cvt_f32_f64_e32 v0, v[2:3]
	v_cvt_f32_f64_e32 v1, v[4:5]
	v_mov_b32_e32 v3, s2
	v_add_co_u32_e32 v2, vcc, s3, v6
	v_addc_co_u32_e32 v3, vcc, v7, v3, vcc
	global_store_dwordx2 v[2:3], v[0:1], off
.LBB0_10:
	s_endpgm
	.section	.rodata,"a",@progbits
	.p2align	6, 0x0
	.amdhsa_kernel bluestein_single_back_len1701_dim1_sp_op_CI_CI
		.amdhsa_group_segment_fixed_size 13608
		.amdhsa_private_segment_fixed_size 496
		.amdhsa_kernarg_size 104
		.amdhsa_user_sgpr_count 6
		.amdhsa_user_sgpr_private_segment_buffer 1
		.amdhsa_user_sgpr_dispatch_ptr 0
		.amdhsa_user_sgpr_queue_ptr 0
		.amdhsa_user_sgpr_kernarg_segment_ptr 1
		.amdhsa_user_sgpr_dispatch_id 0
		.amdhsa_user_sgpr_flat_scratch_init 0
		.amdhsa_user_sgpr_private_segment_size 0
		.amdhsa_uses_dynamic_stack 0
		.amdhsa_system_sgpr_private_segment_wavefront_offset 1
		.amdhsa_system_sgpr_workgroup_id_x 1
		.amdhsa_system_sgpr_workgroup_id_y 0
		.amdhsa_system_sgpr_workgroup_id_z 0
		.amdhsa_system_sgpr_workgroup_info 0
		.amdhsa_system_vgpr_workitem_id 0
		.amdhsa_next_free_vgpr 256
		.amdhsa_next_free_sgpr 24
		.amdhsa_reserve_vcc 1
		.amdhsa_reserve_flat_scratch 0
		.amdhsa_float_round_mode_32 0
		.amdhsa_float_round_mode_16_64 0
		.amdhsa_float_denorm_mode_32 3
		.amdhsa_float_denorm_mode_16_64 3
		.amdhsa_dx10_clamp 1
		.amdhsa_ieee_mode 1
		.amdhsa_fp16_overflow 0
		.amdhsa_exception_fp_ieee_invalid_op 0
		.amdhsa_exception_fp_denorm_src 0
		.amdhsa_exception_fp_ieee_div_zero 0
		.amdhsa_exception_fp_ieee_overflow 0
		.amdhsa_exception_fp_ieee_underflow 0
		.amdhsa_exception_fp_ieee_inexact 0
		.amdhsa_exception_int_div_zero 0
	.end_amdhsa_kernel
	.text
.Lfunc_end0:
	.size	bluestein_single_back_len1701_dim1_sp_op_CI_CI, .Lfunc_end0-bluestein_single_back_len1701_dim1_sp_op_CI_CI
                                        ; -- End function
	.section	.AMDGPU.csdata,"",@progbits
; Kernel info:
; codeLenInByte = 29488
; NumSgprs: 28
; NumVgprs: 256
; ScratchSize: 496
; MemoryBound: 0
; FloatMode: 240
; IeeeMode: 1
; LDSByteSize: 13608 bytes/workgroup (compile time only)
; SGPRBlocks: 3
; VGPRBlocks: 63
; NumSGPRsForWavesPerEU: 28
; NumVGPRsForWavesPerEU: 256
; Occupancy: 1
; WaveLimiterHint : 1
; COMPUTE_PGM_RSRC2:SCRATCH_EN: 1
; COMPUTE_PGM_RSRC2:USER_SGPR: 6
; COMPUTE_PGM_RSRC2:TRAP_HANDLER: 0
; COMPUTE_PGM_RSRC2:TGID_X_EN: 1
; COMPUTE_PGM_RSRC2:TGID_Y_EN: 0
; COMPUTE_PGM_RSRC2:TGID_Z_EN: 0
; COMPUTE_PGM_RSRC2:TIDIG_COMP_CNT: 0
	.type	__hip_cuid_c1ced7338449a2a,@object ; @__hip_cuid_c1ced7338449a2a
	.section	.bss,"aw",@nobits
	.globl	__hip_cuid_c1ced7338449a2a
__hip_cuid_c1ced7338449a2a:
	.byte	0                               ; 0x0
	.size	__hip_cuid_c1ced7338449a2a, 1

	.ident	"AMD clang version 19.0.0git (https://github.com/RadeonOpenCompute/llvm-project roc-6.4.0 25133 c7fe45cf4b819c5991fe208aaa96edf142730f1d)"
	.section	".note.GNU-stack","",@progbits
	.addrsig
	.addrsig_sym __hip_cuid_c1ced7338449a2a
	.amdgpu_metadata
---
amdhsa.kernels:
  - .args:
      - .actual_access:  read_only
        .address_space:  global
        .offset:         0
        .size:           8
        .value_kind:     global_buffer
      - .actual_access:  read_only
        .address_space:  global
        .offset:         8
        .size:           8
        .value_kind:     global_buffer
      - .actual_access:  read_only
        .address_space:  global
        .offset:         16
        .size:           8
        .value_kind:     global_buffer
      - .actual_access:  read_only
        .address_space:  global
        .offset:         24
        .size:           8
        .value_kind:     global_buffer
      - .actual_access:  read_only
        .address_space:  global
        .offset:         32
        .size:           8
        .value_kind:     global_buffer
      - .offset:         40
        .size:           8
        .value_kind:     by_value
      - .address_space:  global
        .offset:         48
        .size:           8
        .value_kind:     global_buffer
      - .address_space:  global
        .offset:         56
        .size:           8
        .value_kind:     global_buffer
      - .address_space:  global
        .offset:         64
        .size:           8
        .value_kind:     global_buffer
      - .address_space:  global
        .offset:         72
        .size:           8
        .value_kind:     global_buffer
      - .offset:         80
        .size:           4
        .value_kind:     by_value
      - .address_space:  global
        .offset:         88
        .size:           8
        .value_kind:     global_buffer
      - .address_space:  global
        .offset:         96
        .size:           8
        .value_kind:     global_buffer
    .group_segment_fixed_size: 13608
    .kernarg_segment_align: 8
    .kernarg_segment_size: 104
    .language:       OpenCL C
    .language_version:
      - 2
      - 0
    .max_flat_workgroup_size: 63
    .name:           bluestein_single_back_len1701_dim1_sp_op_CI_CI
    .private_segment_fixed_size: 496
    .sgpr_count:     28
    .sgpr_spill_count: 0
    .symbol:         bluestein_single_back_len1701_dim1_sp_op_CI_CI.kd
    .uniform_work_group_size: 1
    .uses_dynamic_stack: false
    .vgpr_count:     256
    .vgpr_spill_count: 125
    .wavefront_size: 64
amdhsa.target:   amdgcn-amd-amdhsa--gfx906
amdhsa.version:
  - 1
  - 2
...

	.end_amdgpu_metadata
